;; amdgpu-corpus repo=ROCm/rocSOLVER kind=compiled arch=gfx950 opt=O3
	.amdgcn_target "amdgcn-amd-amdhsa--gfx950"
	.amdhsa_code_object_version 6
	.section	.text._ZN9rocsolver6v33100L18getf2_panel_kernelI19rocblas_complex_numIfEiiPS3_EEvT0_S5_T2_lS5_lPS5_llPT1_S5_S5_S7_l,"axG",@progbits,_ZN9rocsolver6v33100L18getf2_panel_kernelI19rocblas_complex_numIfEiiPS3_EEvT0_S5_T2_lS5_lPS5_llPT1_S5_S5_S7_l,comdat
	.globl	_ZN9rocsolver6v33100L18getf2_panel_kernelI19rocblas_complex_numIfEiiPS3_EEvT0_S5_T2_lS5_lPS5_llPT1_S5_S5_S7_l ; -- Begin function _ZN9rocsolver6v33100L18getf2_panel_kernelI19rocblas_complex_numIfEiiPS3_EEvT0_S5_T2_lS5_lPS5_llPT1_S5_S5_S7_l
	.p2align	8
	.type	_ZN9rocsolver6v33100L18getf2_panel_kernelI19rocblas_complex_numIfEiiPS3_EEvT0_S5_T2_lS5_lPS5_llPT1_S5_S5_S7_l,@function
_ZN9rocsolver6v33100L18getf2_panel_kernelI19rocblas_complex_numIfEiiPS3_EEvT0_S5_T2_lS5_lPS5_llPT1_S5_S5_S7_l: ; @_ZN9rocsolver6v33100L18getf2_panel_kernelI19rocblas_complex_numIfEiiPS3_EEvT0_S5_T2_lS5_lPS5_llPT1_S5_S5_S7_l
; %bb.0:
	s_load_dwordx4 s[4:7], s[0:1], 0x50
	s_load_dword s8, s[0:1], 0x6c
	s_ashr_i32 s21, s3, 31
	s_mov_b32 s20, s3
	s_mov_b64 s[26:27], 0
	s_waitcnt lgkmcnt(0)
	s_cmp_eq_u64 s[4:5], 0
	s_cselect_b64 s[22:23], -1, 0
	s_and_b64 vcc, exec, s[22:23]
	s_cbranch_vccnz .LBB0_2
; %bb.1:
	s_mul_i32 s2, s6, s21
	s_mul_hi_u32 s3, s6, s20
	s_add_i32 s2, s3, s2
	s_mul_i32 s3, s7, s20
	s_add_i32 s3, s2, s3
	s_mul_i32 s2, s6, s20
	s_lshl_b64 s[2:3], s[2:3], 2
	s_add_u32 s26, s4, s2
	s_addc_u32 s27, s5, s3
.LBB0_2:
	s_load_dwordx2 s[28:29], s[0:1], 0x0
	s_load_dwordx4 s[36:39], s[0:1], 0x8
	s_load_dwordx8 s[12:19], s[0:1], 0x20
	s_load_dwordx2 s[24:25], s[0:1], 0x40
	s_and_b32 s6, s8, 0xffff
	v_bfe_u32 v3, v0, 10, 10
	v_and_b32_e32 v2, 0x3ff, v0
	s_waitcnt lgkmcnt(0)
	s_mul_i32 s2, s12, s21
	s_mul_hi_u32 s3, s12, s20
	s_add_i32 s2, s3, s2
	s_mul_i32 s3, s13, s20
	s_add_i32 s3, s2, s3
	s_mul_i32 s2, s12, s20
	s_lshl_b64 s[2:3], s[2:3], 3
	s_add_u32 s4, s36, s2
	s_addc_u32 s5, s37, s3
	s_lshl_b64 s[2:3], s[38:39], 3
	s_add_u32 s30, s4, s2
	s_addc_u32 s31, s5, s3
	s_lshl_b32 s2, s6, 3
	s_add_i32 s33, s2, 8
	s_lshl_b32 s2, s29, 3
	s_add_i32 s38, s33, s2
	;; [unrolled: 2-line block ×3, first 2 shown]
	v_cmp_eq_u32_e64 s[10:11], 0, v3
                                        ; implicit-def: $vgpr20
	s_and_saveexec_b64 s[2:3], s[10:11]
	s_cbranch_execz .LBB0_6
; %bb.3:
	v_cmp_gt_i32_e32 vcc, s28, v2
	v_mov_b32_e32 v0, 0
	v_mov_b32_e32 v1, 0
	s_and_saveexec_b64 s[4:5], vcc
	s_cbranch_execz .LBB0_5
; %bb.4:
	v_lshlrev_b32_e32 v0, 3, v2
	global_load_dwordx2 v[0:1], v0, s[30:31]
.LBB0_5:
	s_or_b64 exec, exec, s[4:5]
	v_lshl_add_u32 v4, v2, 3, 8
	s_waitcnt vmcnt(0)
	v_cmp_gt_f32_e32 vcc, 0, v1
	ds_write_b64 v4, v[0:1]
	s_nop 0
	v_cndmask_b32_e64 v1, v1, -v1, vcc
	v_cmp_gt_f32_e32 vcc, 0, v0
	s_nop 1
	v_cndmask_b32_e64 v0, v0, -v0, vcc
	v_add_f32_e32 v20, v0, v1
	v_lshlrev_b32_e32 v0, 2, v2
	v_add_u32_e32 v1, s38, v0
	v_add_u32_e32 v0, s12, v0
	ds_write_b32 v1, v20
	ds_write_b32 v0, v2
.LBB0_6:
	s_or_b64 exec, exec, s[2:3]
	s_load_dword s39, s[0:1], 0x4c
	s_cmp_lt_i32 s29, 1
	s_cbranch_scc1 .LBB0_56
; %bb.7:
	s_load_dword s40, s[0:1], 0x18
	s_mul_i32 s0, s18, s21
	s_mul_hi_u32 s1, s18, s20
	s_add_i32 s0, s1, s0
	s_mul_i32 s1, s19, s20
	s_add_i32 s1, s0, s1
	s_mul_i32 s0, s18, s20
	s_lshr_b32 s41, s8, 16
	s_lshl_b64 s[0:1], s[0:1], 2
	s_add_u32 s2, s14, s0
	s_addc_u32 s3, s15, s1
	s_lshl_b64 s[0:1], s[16:17], 2
	s_add_u32 s42, s2, s0
	s_addc_u32 s43, s3, s1
	s_lshr_b32 s44, s6, 1
	v_or_b32_e32 v0, v2, v3
	s_cmp_gt_u32 s6, 1
	v_cmp_eq_u32_e64 s[2:3], 0, v0
	v_lshlrev_b32_e32 v0, 3, v2
	v_add_u32_e32 v26, 2, v3
	s_cselect_b64 s[0:1], -1, 0
	v_add_u32_e32 v23, 8, v0
	v_add_u32_e32 v25, s33, v0
	v_mov_b32_e32 v0, 0
	s_waitcnt lgkmcnt(0)
	v_mad_u64_u32 v[6:7], s[8:9], s40, v26, v[2:3]
	v_lshlrev_b32_e32 v1, 3, v3
	v_lshlrev_b32_e32 v4, 2, v2
	s_mov_b32 s15, 0
	v_cmp_gt_u32_e32 vcc, s29, v2
	v_mov_b32_e32 v5, v0
	v_add3_u32 v7, s33, v1, 16
	v_cndmask_b32_e64 v1, 0, 1, s[0:1]
	v_add_u32_e32 v21, s38, v4
	v_add_u32_e32 v22, s12, v4
	s_add_i32 s45, s39, 1
	v_cmp_gt_i32_e64 s[4:5], s28, v2
	s_and_b64 s[16:17], s[10:11], vcc
	v_mul_lo_u32 v24, s40, v2
	v_cmp_le_i32_e64 s[6:7], s28, v2
	s_add_i32 s46, s29, -1
	v_lshl_add_u64 v[4:5], s[26:27], 0, v[4:5]
	s_mul_i32 s47, s40, s41
	s_lshl_b32 s48, s41, 3
	v_cmp_ne_u32_e64 s[8:9], 1, v1
	v_mov_b32_e32 v27, s12
	v_mov_b32_e32 v1, v0
	s_mov_b32 s28, 0
	s_mov_b32 s14, s15
	s_branch .LBB0_9
.LBB0_8:                                ;   in Loop: Header=BB0_9 Depth=1
	s_or_b64 exec, exec, s[0:1]
	s_add_i32 s14, s14, 1
	v_add_u32_e32 v6, s40, v6
	s_cmp_eq_u32 s14, s29
	v_add_u32_e32 v7, 8, v7
	s_cbranch_scc1 .LBB0_57
.LBB0_9:                                ; =>This Loop Header: Depth=1
                                        ;     Child Loop BB0_16 Depth 2
                                        ;     Child Loop BB0_50 Depth 2
	s_and_b64 vcc, exec, s[8:9]
	s_mov_b32 s36, s44
	v_mov_b32_e32 v8, v2
	s_barrier
	s_cbranch_vccnz .LBB0_18
; %bb.10:                               ;   in Loop: Header=BB0_9 Depth=1
	v_cmp_gt_u32_e32 vcc, s36, v2
	s_and_b64 s[0:1], s[10:11], vcc
	s_and_saveexec_b64 s[12:13], s[0:1]
	s_cbranch_execz .LBB0_16
.LBB0_11:                               ;   in Loop: Header=BB0_9 Depth=1
	s_lshl_b32 s0, s36, 2
	v_add_u32_e32 v9, s0, v21
	ds_read_b32 v9, v9
	v_add_u32_e32 v10, s0, v22
	ds_read_b32 v10, v10
	s_waitcnt lgkmcnt(1)
	v_cmp_lt_f32_e64 s[18:19], v20, v9
	v_cmp_nlt_f32_e32 vcc, v20, v9
	s_and_saveexec_b64 s[34:35], vcc
	s_cbranch_execz .LBB0_13
; %bb.12:                               ;   in Loop: Header=BB0_9 Depth=1
	v_cmp_eq_f32_e32 vcc, v20, v9
	s_waitcnt lgkmcnt(0)
	v_cmp_gt_i32_e64 s[0:1], v8, v10
	s_and_b64 s[0:1], vcc, s[0:1]
	s_andn2_b64 s[18:19], s[18:19], exec
	s_and_b64 s[0:1], s[0:1], exec
	s_or_b64 s[18:19], s[18:19], s[0:1]
.LBB0_13:                               ;   in Loop: Header=BB0_9 Depth=1
	s_or_b64 exec, exec, s[34:35]
	s_and_saveexec_b64 s[0:1], s[18:19]
	s_cbranch_execz .LBB0_15
; %bb.14:                               ;   in Loop: Header=BB0_9 Depth=1
	v_mov_b32_e32 v20, v9
	s_waitcnt lgkmcnt(0)
	v_mov_b32_e32 v8, v10
	ds_write_b32 v21, v9
	ds_write_b32 v22, v10
.LBB0_15:                               ;   in Loop: Header=BB0_9 Depth=1
	s_or_b64 exec, exec, s[0:1]
.LBB0_16:                               ;   Parent Loop BB0_9 Depth=1
                                        ; =>  This Inner Loop Header: Depth=2
	s_or_b64 exec, exec, s[12:13]
	s_lshr_b32 s0, s36, 1
	s_cmp_lt_u32 s36, 2
	s_waitcnt lgkmcnt(0)
	s_barrier
	s_cbranch_scc1 .LBB0_18
; %bb.17:                               ;   in Loop: Header=BB0_16 Depth=2
	s_mov_b32 s36, s0
	v_cmp_gt_u32_e32 vcc, s36, v2
	s_and_b64 s[0:1], s[10:11], vcc
	s_and_saveexec_b64 s[12:13], s[0:1]
	s_cbranch_execnz .LBB0_11
	s_branch .LBB0_16
.LBB0_18:                               ;   in Loop: Header=BB0_9 Depth=1
	ds_read_b32 v10, v27
	s_waitcnt lgkmcnt(0)
	v_lshlrev_b32_e32 v8, 3, v10
	v_add_u32_e32 v8, 8, v8
	ds_read_b64 v[8:9], v8
	v_readfirstlane_b32 s18, v10
	s_waitcnt lgkmcnt(0)
	v_cmp_eq_f32_e32 vcc, 0, v8
	v_cmp_eq_f32_e64 s[0:1], 0, v9
	s_and_b64 s[0:1], vcc, s[0:1]
	s_andn2_b64 vcc, exec, s[0:1]
	s_cbranch_vccz .LBB0_21
; %bb.19:                               ;   in Loop: Header=BB0_9 Depth=1
	v_cmp_ngt_f32_e64 s[0:1], |v8|, |v9|
	s_and_b64 vcc, exec, s[0:1]
	s_cbranch_vccz .LBB0_23
; %bb.20:                               ;   in Loop: Header=BB0_9 Depth=1
	v_div_scale_f32 v10, s[0:1], v9, v9, v8
	v_rcp_f32_e32 v11, v10
	v_div_scale_f32 v12, vcc, v8, v9, v8
	v_fma_f32 v13, -v10, v11, 1.0
	v_fmac_f32_e32 v11, v13, v11
	v_mul_f32_e32 v13, v12, v11
	v_fma_f32 v14, -v10, v13, v12
	v_fmac_f32_e32 v13, v14, v11
	v_fma_f32 v10, -v10, v13, v12
	v_div_fmas_f32 v10, v10, v11, v13
	v_div_fixup_f32 v10, v10, v9, v8
	v_fma_f32 v11, v8, v10, v9
	v_div_scale_f32 v12, s[0:1], v11, v11, 1.0
	v_rcp_f32_e32 v13, v12
	s_nop 0
	v_fma_f32 v14, -v12, v13, 1.0
	v_fmac_f32_e32 v13, v14, v13
	v_div_scale_f32 v14, vcc, 1.0, v11, 1.0
	v_mul_f32_e32 v15, v14, v13
	v_fma_f32 v16, -v12, v15, v14
	v_fmac_f32_e32 v15, v16, v13
	v_fma_f32 v12, -v12, v15, v14
	v_div_fmas_f32 v12, v12, v13, v15
	v_div_fixup_f32 v11, v12, v11, 1.0
	v_mul_f32_e32 v10, v10, v11
	v_xor_b32_e32 v11, 0x80000000, v11
	s_cbranch_execz .LBB0_24
	s_branch .LBB0_25
.LBB0_21:                               ;   in Loop: Header=BB0_9 Depth=1
                                        ; implicit-def: $vgpr11
	s_branch .LBB0_26
.LBB0_22:                               ;   in Loop: Header=BB0_9 Depth=1
	v_mov_b32_e32 v8, v10
	v_mov_b32_e32 v9, v11
	s_and_saveexec_b64 s[0:1], s[2:3]
	s_cbranch_execnz .LBB0_27
	s_branch .LBB0_28
.LBB0_23:                               ;   in Loop: Header=BB0_9 Depth=1
                                        ; implicit-def: $vgpr11
.LBB0_24:                               ;   in Loop: Header=BB0_9 Depth=1
	v_div_scale_f32 v10, s[0:1], v8, v8, v9
	v_rcp_f32_e32 v11, v10
	v_div_scale_f32 v12, vcc, v9, v8, v9
	v_fma_f32 v13, -v10, v11, 1.0
	v_fmac_f32_e32 v11, v13, v11
	v_mul_f32_e32 v13, v12, v11
	v_fma_f32 v14, -v10, v13, v12
	v_fmac_f32_e32 v13, v14, v11
	v_fma_f32 v10, -v10, v13, v12
	v_div_fmas_f32 v10, v10, v11, v13
	v_div_fixup_f32 v11, v10, v8, v9
	v_fma_f32 v10, v9, v11, v8
	v_div_scale_f32 v12, s[0:1], v10, v10, 1.0
	v_rcp_f32_e32 v13, v12
	s_nop 0
	v_fma_f32 v14, -v12, v13, 1.0
	v_fmac_f32_e32 v13, v14, v13
	v_div_scale_f32 v14, vcc, 1.0, v10, 1.0
	v_mul_f32_e32 v15, v14, v13
	v_fma_f32 v16, -v12, v15, v14
	v_fmac_f32_e32 v15, v16, v13
	v_fma_f32 v12, -v12, v15, v14
	v_div_fmas_f32 v12, v12, v13, v15
	v_div_fixup_f32 v10, v12, v10, 1.0
	v_mul_f32_e64 v11, v11, -v10
.LBB0_25:                               ;   in Loop: Header=BB0_9 Depth=1
	s_cbranch_execnz .LBB0_22
.LBB0_26:                               ;   in Loop: Header=BB0_9 Depth=1
	s_add_i32 s0, s14, 1
	s_cmp_eq_u32 s28, 0
	s_cselect_b32 s28, s0, s28
	v_mov_b64_e32 v[10:11], v[8:9]
	s_mov_b32 s18, s14
	s_and_saveexec_b64 s[0:1], s[2:3]
	s_cbranch_execz .LBB0_28
.LBB0_27:                               ;   in Loop: Header=BB0_9 Depth=1
	s_lshl_b64 s[12:13], s[14:15], 2
	s_add_u32 s12, s42, s12
	s_addc_u32 s13, s43, s13
	s_add_i32 s19, s45, s18
	v_mov_b32_e32 v12, s19
	global_store_dword v0, v12, s[12:13]
.LBB0_28:                               ;   in Loop: Header=BB0_9 Depth=1
	s_or_b64 exec, exec, s[0:1]
	v_cmp_eq_u32_e32 vcc, s18, v2
	v_cmp_ne_u32_e64 s[0:1], s18, v2
	s_and_saveexec_b64 s[12:13], s[0:1]
	s_cbranch_execz .LBB0_32
; %bb.29:                               ;   in Loop: Header=BB0_9 Depth=1
	ds_read_b64 v[12:13], v23
	v_cmp_le_u32_e64 s[0:1], s14, v2
	s_and_b64 s[0:1], s[10:11], s[0:1]
	s_and_b64 s[34:35], s[4:5], s[0:1]
	s_waitcnt lgkmcnt(0)
	v_pk_mul_f32 v[14:15], v[10:11], v[12:13] op_sel:[1,1] op_sel_hi:[1,0]
	s_nop 0
	v_pk_fma_f32 v[8:9], v[10:11], v[12:13], v[14:15] op_sel_hi:[0,1,1] neg_lo:[0,0,1] neg_hi:[0,0,1]
	v_pk_fma_f32 v[10:11], v[10:11], v[12:13], v[14:15] op_sel_hi:[0,1,1]
	s_and_saveexec_b64 s[0:1], s[34:35]
	s_cbranch_execz .LBB0_31
; %bb.30:                               ;   in Loop: Header=BB0_9 Depth=1
	s_mul_i32 s19, s14, s40
	v_add_u32_e32 v12, s19, v2
	v_ashrrev_i32_e32 v13, 31, v12
	v_mov_b32_e32 v9, v11
	v_lshl_add_u64 v[12:13], v[12:13], 3, s[30:31]
	global_store_dwordx2 v[12:13], v[8:9], off
.LBB0_31:                               ;   in Loop: Header=BB0_9 Depth=1
	s_or_b64 exec, exec, s[0:1]
	v_mov_b32_e32 v9, v11
.LBB0_32:                               ;   in Loop: Header=BB0_9 Depth=1
	s_or_b64 exec, exec, s[12:13]
	v_add_u32_e32 v10, s18, v24
	v_ashrrev_i32_e32 v11, 31, v10
	s_and_saveexec_b64 s[12:13], s[16:17]
	s_cbranch_execz .LBB0_35
; %bb.33:                               ;   in Loop: Header=BB0_9 Depth=1
	v_lshl_add_u64 v[12:13], v[10:11], 3, s[30:31]
	global_load_dwordx2 v[12:13], v[12:13], off
	v_cmp_eq_u32_e64 s[0:1], s14, v2
	s_waitcnt vmcnt(0)
	ds_write_b64 v25, v[12:13]
	s_and_b64 exec, exec, s[0:1]
; %bb.34:                               ;   in Loop: Header=BB0_9 Depth=1
	ds_write_b64 v0, v[8:9]
.LBB0_35:                               ;   in Loop: Header=BB0_9 Depth=1
	s_or_b64 exec, exec, s[12:13]
	s_cmp_lg_u32 s18, s14
	s_cselect_b64 s[0:1], -1, 0
	s_and_b64 s[0:1], s[16:17], s[0:1]
	s_waitcnt lgkmcnt(0)
	s_barrier
	s_and_saveexec_b64 s[34:35], s[0:1]
	s_cbranch_execz .LBB0_45
; %bb.36:                               ;   in Loop: Header=BB0_9 Depth=1
	v_add_u32_e32 v12, s14, v24
	s_mov_b64 s[0:1], src_shared_base
	v_ashrrev_i32_e32 v13, 31, v12
	v_lshl_add_u64 v[12:13], v[12:13], 3, s[30:31]
	v_mov_b32_e32 v14, s1
	v_cmp_ne_u32_e64 s[0:1], s14, v2
	v_cmp_ge_u32_e64 s[12:13], s14, v2
                                        ; implicit-def: $vgpr16_vgpr17
	s_nop 0
	v_cndmask_b32_e64 v15, v14, v13, s[0:1]
	v_cndmask_b32_e64 v14, 0, v12, s[0:1]
	flat_load_dwordx2 v[14:15], v[14:15]
	s_and_saveexec_b64 s[36:37], s[12:13]
	s_xor_b64 s[12:13], exec, s[36:37]
; %bb.37:                               ;   in Loop: Header=BB0_9 Depth=1
	ds_read_b64 v[16:17], v25
; %bb.38:                               ;   in Loop: Header=BB0_9 Depth=1
	s_or_saveexec_b64 s[12:13], s[12:13]
	v_mov_b32_e32 v18, 0
	v_mov_b32_e32 v19, 0
	s_xor_b64 exec, exec, s[12:13]
	s_cbranch_execz .LBB0_40
; %bb.39:                               ;   in Loop: Header=BB0_9 Depth=1
	ds_read_b64 v[18:19], v0
	s_waitcnt lgkmcnt(0)
	ds_read_b64 v[16:17], v25
	s_waitcnt lgkmcnt(0)
	v_pk_mul_f32 v[28:29], v[16:17], v[18:19] op_sel:[1,1] op_sel_hi:[0,1]
	v_pk_mul_f32 v[30:31], v[16:17], v[18:19] op_sel_hi:[1,0]
	v_pk_fma_f32 v[18:19], v[16:17], v[18:19], v[28:29] op_sel_hi:[1,0,1]
	s_nop 0
	v_sub_f32_e32 v18, v30, v28
.LBB0_40:                               ;   in Loop: Header=BB0_9 Depth=1
	s_or_b64 exec, exec, s[12:13]
	s_add_i32 s12, s14, 1
	s_waitcnt vmcnt(0) lgkmcnt(0)
	v_pk_add_f32 v[14:15], v[14:15], v[18:19] neg_lo:[0,1] neg_hi:[0,1]
	v_lshl_add_u64 v[10:11], v[10:11], 3, s[30:31]
	v_cmp_eq_u32_e64 s[12:13], s12, v2
	global_store_dwordx2 v[10:11], v[14:15], off
	global_store_dwordx2 v[12:13], v[16:17], off
	s_and_saveexec_b64 s[36:37], s[12:13]
	s_cbranch_execz .LBB0_42
; %bb.41:                               ;   in Loop: Header=BB0_9 Depth=1
	s_lshl_b32 s12, s18, 3
	s_add_i32 s12, s12, 8
	v_mov_b32_e32 v10, s12
	v_cmp_gt_f32_e64 s[12:13], 0, v14
	ds_write_b64 v10, v[14:15]
	s_nop 0
	v_cndmask_b32_e64 v10, v14, -v14, s[12:13]
	v_cmp_gt_f32_e64 s[12:13], 0, v15
	s_nop 1
	v_cndmask_b32_e64 v11, v15, -v15, s[12:13]
	s_lshl_b32 s12, s18, 2
	s_add_i32 s12, s38, s12
	v_add_f32_e32 v20, v11, v10
	v_mov_b32_e32 v10, s12
	ds_write_b32 v10, v20
.LBB0_42:                               ;   in Loop: Header=BB0_9 Depth=1
	s_or_b64 exec, exec, s[36:37]
	s_nor_b64 s[12:13], s[22:23], s[0:1]
	s_and_saveexec_b64 s[0:1], s[12:13]
	s_cbranch_execz .LBB0_44
; %bb.43:                               ;   in Loop: Header=BB0_9 Depth=1
	s_ashr_i32 s19, s18, 31
	s_lshl_b64 s[12:13], s[18:19], 2
	s_add_u32 s12, s26, s12
	s_addc_u32 s13, s27, s13
	global_load_dword v10, v0, s[12:13]
	global_load_dword v11, v[4:5], off
	s_waitcnt vmcnt(1)
	global_store_dword v[4:5], v10, off
	s_waitcnt vmcnt(1)
	global_store_dword v0, v11, s[12:13]
.LBB0_44:                               ;   in Loop: Header=BB0_9 Depth=1
	s_or_b64 exec, exec, s[0:1]
.LBB0_45:                               ;   in Loop: Header=BB0_9 Depth=1
	s_or_b64 exec, exec, s[34:35]
	v_cmp_ge_u32_e64 s[0:1], s14, v2
	s_or_b64 s[12:13], s[6:7], s[0:1]
	s_nor_b64 s[18:19], s[12:13], vcc
	s_and_saveexec_b64 s[12:13], s[18:19]
	s_cbranch_execnz .LBB0_48
; %bb.46:                               ;   in Loop: Header=BB0_9 Depth=1
	s_or_b64 exec, exec, s[12:13]
	s_and_b64 s[12:13], s[10:11], s[0:1]
	s_and_saveexec_b64 s[0:1], s[12:13]
	s_cbranch_execnz .LBB0_54
.LBB0_47:                               ;   in Loop: Header=BB0_9 Depth=1
	s_or_b64 exec, exec, s[0:1]
	s_and_saveexec_b64 s[0:1], s[10:11]
	s_cbranch_execz .LBB0_8
	s_branch .LBB0_55
.LBB0_48:                               ;   in Loop: Header=BB0_9 Depth=1
	v_add_u32_e32 v16, s14, v26
	v_cmp_gt_i32_e32 vcc, s29, v16
	s_and_saveexec_b64 s[18:19], vcc
	s_cbranch_execz .LBB0_51
; %bb.49:                               ;   in Loop: Header=BB0_9 Depth=1
	v_mov_b32_e32 v10, v9
	v_mov_b32_e32 v11, v9
	;; [unrolled: 1-line block ×4, first 2 shown]
	s_mov_b64 s[34:35], 0
	v_mov_b32_e32 v17, v7
	v_mov_b32_e32 v14, v6
.LBB0_50:                               ;   Parent Loop BB0_9 Depth=1
                                        ; =>  This Inner Loop Header: Depth=2
	v_ashrrev_i32_e32 v15, 31, v14
	v_lshl_add_u64 v[18:19], v[14:15], 3, s[30:31]
	global_load_dwordx2 v[28:29], v[18:19], off
	ds_read_b64 v[30:31], v17
	v_add_u32_e32 v16, s41, v16
	v_cmp_le_i32_e32 vcc, s29, v16
	v_add_u32_e32 v17, s48, v17
	v_add_u32_e32 v14, s47, v14
	s_waitcnt lgkmcnt(0)
	v_pk_mul_f32 v[32:33], v[10:11], v[30:31] op_sel:[0,1] op_sel_hi:[1,0]
	s_or_b64 s[34:35], vcc, s[34:35]
	v_pk_fma_f32 v[34:35], v[12:13], v[30:31], v[32:33] neg_lo:[0,0,1] neg_hi:[0,0,1]
	v_pk_fma_f32 v[30:31], v[12:13], v[30:31], v[32:33]
	s_nop 0
	v_mov_b32_e32 v35, v31
	s_waitcnt vmcnt(0)
	v_pk_add_f32 v[28:29], v[28:29], v[34:35] neg_lo:[0,1] neg_hi:[0,1]
	global_store_dwordx2 v[18:19], v[28:29], off
	s_andn2_b64 exec, exec, s[34:35]
	s_cbranch_execnz .LBB0_50
.LBB0_51:                               ;   in Loop: Header=BB0_9 Depth=1
	s_or_b64 exec, exec, s[18:19]
	s_cmp_lt_i32 s14, s46
	s_cselect_b64 s[18:19], -1, 0
	s_and_b64 s[34:35], s[10:11], s[18:19]
	s_and_saveexec_b64 s[18:19], s[34:35]
	s_cbranch_execz .LBB0_53
; %bb.52:                               ;   in Loop: Header=BB0_9 Depth=1
	s_add_i32 s34, s14, 1
	s_mul_i32 s34, s34, s40
	v_add_u32_e32 v10, s34, v2
	v_ashrrev_i32_e32 v11, 31, v10
	v_lshl_add_u64 v[10:11], v[10:11], 3, s[30:31]
	global_load_dwordx2 v[12:13], v[10:11], off
	s_lshl_b32 s34, s14, 3
	s_add_i32 s34, s33, s34
	v_mov_b32_e32 v14, s34
	ds_read_b64 v[14:15], v14 offset:8
	s_waitcnt lgkmcnt(0)
	v_pk_mul_f32 v[16:17], v[8:9], v[14:15] op_sel:[1,1] op_sel_hi:[1,0]
	s_nop 0
	v_pk_fma_f32 v[18:19], v[8:9], v[14:15], v[16:17] neg_lo:[0,0,1] neg_hi:[0,0,1]
	v_pk_fma_f32 v[8:9], v[8:9], v[14:15], v[16:17] op_sel_hi:[0,1,1]
	v_mov_b32_e32 v19, v9
	s_waitcnt vmcnt(0)
	v_pk_add_f32 v[8:9], v[12:13], v[18:19] neg_lo:[0,1] neg_hi:[0,1]
	s_nop 0
	v_cmp_gt_f32_e32 vcc, 0, v9
	global_store_dwordx2 v[10:11], v[8:9], off
	ds_write_b64 v23, v[8:9]
	v_cndmask_b32_e64 v9, v9, -v9, vcc
	v_cmp_gt_f32_e32 vcc, 0, v8
	s_nop 1
	v_cndmask_b32_e64 v8, v8, -v8, vcc
	v_add_f32_e32 v20, v8, v9
	ds_write_b32 v21, v20
.LBB0_53:                               ;   in Loop: Header=BB0_9 Depth=1
	s_or_b64 exec, exec, s[18:19]
	s_or_b64 exec, exec, s[12:13]
	s_and_b64 s[12:13], s[10:11], s[0:1]
	s_and_saveexec_b64 s[0:1], s[12:13]
	s_cbranch_execz .LBB0_47
.LBB0_54:                               ;   in Loop: Header=BB0_9 Depth=1
	v_mov_b32_e32 v20, 0
	ds_write_b64 v23, v[0:1]
	ds_write_b32 v21, v0
	s_or_b64 exec, exec, s[0:1]
	s_and_saveexec_b64 s[0:1], s[10:11]
	s_cbranch_execz .LBB0_8
.LBB0_55:                               ;   in Loop: Header=BB0_9 Depth=1
	ds_write_b32 v22, v2
	s_branch .LBB0_8
.LBB0_56:
	s_mov_b32 s28, 0
.LBB0_57:
	v_cmp_eq_u32_e32 vcc, 0, v2
	s_and_saveexec_b64 s[0:1], vcc
	s_cbranch_execz .LBB0_60
; %bb.58:
	s_lshl_b64 s[0:1], s[20:21], 2
	s_add_u32 s0, s24, s0
	s_addc_u32 s1, s25, s1
	v_mov_b32_e32 v0, 0
	global_load_dword v1, v0, s[0:1]
	s_cmp_gt_i32 s28, 0
	s_cselect_b64 s[2:3], -1, 0
	s_waitcnt vmcnt(0)
	v_or_b32_e32 v1, v1, v3
	v_cmp_eq_u32_e32 vcc, 0, v1
	s_and_b64 s[2:3], vcc, s[2:3]
	s_and_b64 exec, exec, s[2:3]
	s_cbranch_execz .LBB0_60
; %bb.59:
	s_waitcnt lgkmcnt(0)
	s_add_i32 s2, s28, s39
	v_mov_b32_e32 v1, s2
	global_store_dword v0, v1, s[0:1]
.LBB0_60:
	s_endpgm
	.section	.rodata,"a",@progbits
	.p2align	6, 0x0
	.amdhsa_kernel _ZN9rocsolver6v33100L18getf2_panel_kernelI19rocblas_complex_numIfEiiPS3_EEvT0_S5_T2_lS5_lPS5_llPT1_S5_S5_S7_l
		.amdhsa_group_segment_fixed_size 8
		.amdhsa_private_segment_fixed_size 0
		.amdhsa_kernarg_size 352
		.amdhsa_user_sgpr_count 2
		.amdhsa_user_sgpr_dispatch_ptr 0
		.amdhsa_user_sgpr_queue_ptr 0
		.amdhsa_user_sgpr_kernarg_segment_ptr 1
		.amdhsa_user_sgpr_dispatch_id 0
		.amdhsa_user_sgpr_kernarg_preload_length 0
		.amdhsa_user_sgpr_kernarg_preload_offset 0
		.amdhsa_user_sgpr_private_segment_size 0
		.amdhsa_uses_dynamic_stack 0
		.amdhsa_enable_private_segment 0
		.amdhsa_system_sgpr_workgroup_id_x 1
		.amdhsa_system_sgpr_workgroup_id_y 0
		.amdhsa_system_sgpr_workgroup_id_z 1
		.amdhsa_system_sgpr_workgroup_info 0
		.amdhsa_system_vgpr_workitem_id 1
		.amdhsa_next_free_vgpr 36
		.amdhsa_next_free_sgpr 49
		.amdhsa_accum_offset 36
		.amdhsa_reserve_vcc 1
		.amdhsa_float_round_mode_32 0
		.amdhsa_float_round_mode_16_64 0
		.amdhsa_float_denorm_mode_32 3
		.amdhsa_float_denorm_mode_16_64 3
		.amdhsa_dx10_clamp 1
		.amdhsa_ieee_mode 1
		.amdhsa_fp16_overflow 0
		.amdhsa_tg_split 0
		.amdhsa_exception_fp_ieee_invalid_op 0
		.amdhsa_exception_fp_denorm_src 0
		.amdhsa_exception_fp_ieee_div_zero 0
		.amdhsa_exception_fp_ieee_overflow 0
		.amdhsa_exception_fp_ieee_underflow 0
		.amdhsa_exception_fp_ieee_inexact 0
		.amdhsa_exception_int_div_zero 0
	.end_amdhsa_kernel
	.section	.text._ZN9rocsolver6v33100L18getf2_panel_kernelI19rocblas_complex_numIfEiiPS3_EEvT0_S5_T2_lS5_lPS5_llPT1_S5_S5_S7_l,"axG",@progbits,_ZN9rocsolver6v33100L18getf2_panel_kernelI19rocblas_complex_numIfEiiPS3_EEvT0_S5_T2_lS5_lPS5_llPT1_S5_S5_S7_l,comdat
.Lfunc_end0:
	.size	_ZN9rocsolver6v33100L18getf2_panel_kernelI19rocblas_complex_numIfEiiPS3_EEvT0_S5_T2_lS5_lPS5_llPT1_S5_S5_S7_l, .Lfunc_end0-_ZN9rocsolver6v33100L18getf2_panel_kernelI19rocblas_complex_numIfEiiPS3_EEvT0_S5_T2_lS5_lPS5_llPT1_S5_S5_S7_l
                                        ; -- End function
	.set _ZN9rocsolver6v33100L18getf2_panel_kernelI19rocblas_complex_numIfEiiPS3_EEvT0_S5_T2_lS5_lPS5_llPT1_S5_S5_S7_l.num_vgpr, 36
	.set _ZN9rocsolver6v33100L18getf2_panel_kernelI19rocblas_complex_numIfEiiPS3_EEvT0_S5_T2_lS5_lPS5_llPT1_S5_S5_S7_l.num_agpr, 0
	.set _ZN9rocsolver6v33100L18getf2_panel_kernelI19rocblas_complex_numIfEiiPS3_EEvT0_S5_T2_lS5_lPS5_llPT1_S5_S5_S7_l.numbered_sgpr, 49
	.set _ZN9rocsolver6v33100L18getf2_panel_kernelI19rocblas_complex_numIfEiiPS3_EEvT0_S5_T2_lS5_lPS5_llPT1_S5_S5_S7_l.num_named_barrier, 0
	.set _ZN9rocsolver6v33100L18getf2_panel_kernelI19rocblas_complex_numIfEiiPS3_EEvT0_S5_T2_lS5_lPS5_llPT1_S5_S5_S7_l.private_seg_size, 0
	.set _ZN9rocsolver6v33100L18getf2_panel_kernelI19rocblas_complex_numIfEiiPS3_EEvT0_S5_T2_lS5_lPS5_llPT1_S5_S5_S7_l.uses_vcc, 1
	.set _ZN9rocsolver6v33100L18getf2_panel_kernelI19rocblas_complex_numIfEiiPS3_EEvT0_S5_T2_lS5_lPS5_llPT1_S5_S5_S7_l.uses_flat_scratch, 0
	.set _ZN9rocsolver6v33100L18getf2_panel_kernelI19rocblas_complex_numIfEiiPS3_EEvT0_S5_T2_lS5_lPS5_llPT1_S5_S5_S7_l.has_dyn_sized_stack, 0
	.set _ZN9rocsolver6v33100L18getf2_panel_kernelI19rocblas_complex_numIfEiiPS3_EEvT0_S5_T2_lS5_lPS5_llPT1_S5_S5_S7_l.has_recursion, 0
	.set _ZN9rocsolver6v33100L18getf2_panel_kernelI19rocblas_complex_numIfEiiPS3_EEvT0_S5_T2_lS5_lPS5_llPT1_S5_S5_S7_l.has_indirect_call, 0
	.section	.AMDGPU.csdata,"",@progbits
; Kernel info:
; codeLenInByte = 2516
; TotalNumSgprs: 55
; NumVgprs: 36
; NumAgprs: 0
; TotalNumVgprs: 36
; ScratchSize: 0
; MemoryBound: 0
; FloatMode: 240
; IeeeMode: 1
; LDSByteSize: 8 bytes/workgroup (compile time only)
; SGPRBlocks: 6
; VGPRBlocks: 4
; NumSGPRsForWavesPerEU: 55
; NumVGPRsForWavesPerEU: 36
; AccumOffset: 36
; Occupancy: 8
; WaveLimiterHint : 0
; COMPUTE_PGM_RSRC2:SCRATCH_EN: 0
; COMPUTE_PGM_RSRC2:USER_SGPR: 2
; COMPUTE_PGM_RSRC2:TRAP_HANDLER: 0
; COMPUTE_PGM_RSRC2:TGID_X_EN: 1
; COMPUTE_PGM_RSRC2:TGID_Y_EN: 0
; COMPUTE_PGM_RSRC2:TGID_Z_EN: 1
; COMPUTE_PGM_RSRC2:TIDIG_COMP_CNT: 1
; COMPUTE_PGM_RSRC3_GFX90A:ACCUM_OFFSET: 8
; COMPUTE_PGM_RSRC3_GFX90A:TG_SPLIT: 0
	.section	.text._ZN9rocsolver6v33100L23getf2_npvt_panel_kernelI19rocblas_complex_numIfEiiPS3_EEvT0_S5_T2_lS5_lPT1_S5_S5_,"axG",@progbits,_ZN9rocsolver6v33100L23getf2_npvt_panel_kernelI19rocblas_complex_numIfEiiPS3_EEvT0_S5_T2_lS5_lPT1_S5_S5_,comdat
	.globl	_ZN9rocsolver6v33100L23getf2_npvt_panel_kernelI19rocblas_complex_numIfEiiPS3_EEvT0_S5_T2_lS5_lPT1_S5_S5_ ; -- Begin function _ZN9rocsolver6v33100L23getf2_npvt_panel_kernelI19rocblas_complex_numIfEiiPS3_EEvT0_S5_T2_lS5_lPT1_S5_S5_
	.p2align	8
	.type	_ZN9rocsolver6v33100L23getf2_npvt_panel_kernelI19rocblas_complex_numIfEiiPS3_EEvT0_S5_T2_lS5_lPT1_S5_S5_,@function
_ZN9rocsolver6v33100L23getf2_npvt_panel_kernelI19rocblas_complex_numIfEiiPS3_EEvT0_S5_T2_lS5_lPT1_S5_S5_: ; @_ZN9rocsolver6v33100L23getf2_npvt_panel_kernelI19rocblas_complex_numIfEiiPS3_EEvT0_S5_T2_lS5_lPT1_S5_S5_
; %bb.0:
	s_load_dwordx2 s[14:15], s[0:1], 0x0
	s_load_dwordx4 s[4:7], s[0:1], 0x8
	s_load_dwordx4 s[8:11], s[0:1], 0x20
	s_ashr_i32 s13, s3, 31
	s_mov_b32 s12, s3
	s_load_dword s16, s[0:1], 0x44
	v_bfe_u32 v3, v0, 10, 10
	s_waitcnt lgkmcnt(0)
	s_mul_hi_u32 s2, s8, s3
	s_mul_i32 s3, s8, s13
	s_add_i32 s2, s2, s3
	s_mul_i32 s3, s9, s12
	s_add_i32 s3, s2, s3
	s_mul_i32 s2, s8, s12
	s_lshl_b64 s[2:3], s[2:3], 3
	s_add_u32 s4, s4, s2
	s_addc_u32 s5, s5, s3
	s_lshl_b64 s[2:3], s[6:7], 3
	s_add_u32 s8, s4, s2
	v_and_b32_e32 v2, 0x3ff, v0
	s_addc_u32 s9, s5, s3
	v_cmp_eq_u32_e64 s[2:3], 0, v3
	s_and_saveexec_b64 s[4:5], s[2:3]
	s_cbranch_execz .LBB1_4
; %bb.1:
	v_cmp_gt_i32_e32 vcc, s14, v2
	v_mov_b32_e32 v0, 0
	v_mov_b32_e32 v1, 0
	s_and_saveexec_b64 s[6:7], vcc
	s_cbranch_execz .LBB1_3
; %bb.2:
	v_lshlrev_b32_e32 v0, 3, v2
	global_load_dwordx2 v[0:1], v0, s[8:9]
.LBB1_3:
	s_or_b64 exec, exec, s[6:7]
	v_lshl_add_u32 v4, v2, 3, 0
	s_waitcnt vmcnt(0)
	ds_write_b64 v4, v[0:1]
.LBB1_4:
	s_or_b64 exec, exec, s[4:5]
	s_cmp_lt_i32 s15, 1
	s_cbranch_scc1 .LBB1_29
; %bb.5:
	s_load_dword s23, s[0:1], 0x18
	s_and_b32 s4, s16, 0xffff
	s_lshl_b32 s4, s4, 3
	s_add_i32 s25, s4, 0
	v_lshlrev_b32_e32 v0, 3, v2
	v_add_u32_e32 v17, 2, v3
	v_add_u32_e32 v14, 0, v0
	;; [unrolled: 1-line block ×3, first 2 shown]
	s_waitcnt lgkmcnt(0)
	v_mad_u64_u32 v[0:1], s[6:7], s23, v17, v[2:3]
	s_lshr_b32 s24, s16, 16
	v_cmp_gt_u32_e32 vcc, s15, v2
	v_lshlrev_b32_e32 v1, 3, v3
	v_mov_b32_e32 v4, 0
	s_mov_b32 s22, 0
	v_cmp_gt_i32_e64 s[4:5], s14, v2
	s_and_b64 s[16:17], s[2:3], vcc
	v_mul_lo_u32 v15, s23, v2
	s_add_i32 s14, s15, -1
	s_mul_i32 s26, s23, s24
	v_add3_u32 v1, s25, v1, 16
	s_lshl_b32 s27, s24, 3
	v_mov_b32_e32 v5, v4
	s_mov_b32 s28, 0
	s_branch .LBB1_7
.LBB1_6:                                ;   in Loop: Header=BB1_7 Depth=1
	s_or_b64 exec, exec, s[6:7]
	s_add_i32 s28, s28, 1
	v_add_u32_e32 v0, s23, v0
	s_cmp_eq_u32 s28, s15
	v_add_u32_e32 v1, 8, v1
	s_cbranch_scc1 .LBB1_30
.LBB1_7:                                ; =>This Loop Header: Depth=1
                                        ;     Child Loop BB1_21 Depth 2
	s_lshl_b32 s29, s28, 3
	s_add_i32 s6, s29, 0
	v_mov_b32_e32 v6, s6
	s_barrier
	ds_read_b64 v[8:9], v6
	s_waitcnt lgkmcnt(0)
	v_cmp_eq_f32_e32 vcc, 0, v8
	v_cmp_eq_f32_e64 s[6:7], 0, v9
	s_and_b64 s[6:7], vcc, s[6:7]
	s_cmp_eq_u32 s22, 0
	s_cselect_b64 s[18:19], -1, 0
	s_and_b64 s[6:7], s[6:7], s[18:19]
	s_andn2_b64 vcc, exec, s[6:7]
	s_cbranch_vccz .LBB1_10
; %bb.8:                                ;   in Loop: Header=BB1_7 Depth=1
	v_cmp_ngt_f32_e64 s[6:7], |v8|, |v9|
	s_and_b64 vcc, exec, s[6:7]
	s_cbranch_vccz .LBB1_11
; %bb.9:                                ;   in Loop: Header=BB1_7 Depth=1
	v_div_scale_f32 v6, s[6:7], v9, v9, v8
	v_rcp_f32_e32 v7, v6
	v_div_scale_f32 v10, vcc, v8, v9, v8
	v_fma_f32 v11, -v6, v7, 1.0
	v_fmac_f32_e32 v7, v11, v7
	v_mul_f32_e32 v11, v10, v7
	v_fma_f32 v12, -v6, v11, v10
	v_fmac_f32_e32 v11, v12, v7
	v_fma_f32 v6, -v6, v11, v10
	v_div_fmas_f32 v6, v6, v7, v11
	v_div_fixup_f32 v6, v6, v9, v8
	v_fma_f32 v7, v8, v6, v9
	v_div_scale_f32 v10, s[6:7], v7, v7, 1.0
	v_rcp_f32_e32 v11, v10
	s_nop 0
	v_fma_f32 v12, -v10, v11, 1.0
	v_fmac_f32_e32 v11, v12, v11
	v_div_scale_f32 v12, vcc, 1.0, v7, 1.0
	v_mul_f32_e32 v13, v12, v11
	v_fma_f32 v18, -v10, v13, v12
	v_fmac_f32_e32 v13, v18, v11
	v_fma_f32 v10, -v10, v13, v12
	v_div_fmas_f32 v10, v10, v11, v13
	v_div_fixup_f32 v7, v10, v7, 1.0
	v_mul_f32_e32 v10, v6, v7
	v_xor_b32_e32 v11, 0x80000000, v7
	v_mov_b32_e32 v6, v10
	v_mov_b64_e32 v[12:13], v[10:11]
	s_cbranch_execz .LBB1_12
	s_branch .LBB1_13
.LBB1_10:                               ;   in Loop: Header=BB1_7 Depth=1
                                        ; implicit-def: $vgpr11
                                        ; implicit-def: $vgpr6
                                        ; implicit-def: $vgpr12_vgpr13
	s_branch .LBB1_14
.LBB1_11:                               ;   in Loop: Header=BB1_7 Depth=1
                                        ; implicit-def: $vgpr11
                                        ; implicit-def: $vgpr6
                                        ; implicit-def: $vgpr12_vgpr13
.LBB1_12:                               ;   in Loop: Header=BB1_7 Depth=1
	v_div_scale_f32 v6, s[6:7], v8, v8, v9
	v_rcp_f32_e32 v7, v6
	v_div_scale_f32 v10, vcc, v9, v8, v9
	v_fma_f32 v11, -v6, v7, 1.0
	v_fmac_f32_e32 v7, v11, v7
	v_mul_f32_e32 v11, v10, v7
	v_fma_f32 v12, -v6, v11, v10
	v_fmac_f32_e32 v11, v12, v7
	v_fma_f32 v6, -v6, v11, v10
	v_div_fmas_f32 v6, v6, v7, v11
	v_div_fixup_f32 v6, v6, v8, v9
	v_fma_f32 v7, v9, v6, v8
	v_div_scale_f32 v10, s[6:7], v7, v7, 1.0
	v_rcp_f32_e32 v11, v10
	s_nop 0
	v_fma_f32 v12, -v10, v11, 1.0
	v_fmac_f32_e32 v11, v12, v11
	v_div_scale_f32 v12, vcc, 1.0, v7, 1.0
	v_mul_f32_e32 v13, v12, v11
	v_fma_f32 v18, -v10, v13, v12
	v_fmac_f32_e32 v13, v18, v11
	v_fma_f32 v10, -v10, v13, v12
	v_div_fmas_f32 v10, v10, v11, v13
	v_div_fixup_f32 v10, v10, v7, 1.0
	v_mul_f32_e64 v11, v6, -v10
	v_mov_b32_e32 v6, v10
	v_mov_b64_e32 v[12:13], v[10:11]
.LBB1_13:                               ;   in Loop: Header=BB1_7 Depth=1
	s_cbranch_execnz .LBB1_15
.LBB1_14:                               ;   in Loop: Header=BB1_7 Depth=1
	s_add_i32 s22, s28, 1
	v_mov_b64_e32 v[12:13], v[8:9]
	v_mov_b32_e32 v6, v8
	v_mov_b32_e32 v11, v9
.LBB1_15:                               ;   in Loop: Header=BB1_7 Depth=1
	v_cmp_ne_u32_e32 vcc, s28, v2
	s_and_saveexec_b64 s[6:7], vcc
	s_cbranch_execnz .LBB1_26
; %bb.16:                               ;   in Loop: Header=BB1_7 Depth=1
	s_or_b64 exec, exec, s[6:7]
	s_and_saveexec_b64 s[6:7], s[16:17]
	s_cbranch_execz .LBB1_18
.LBB1_17:                               ;   in Loop: Header=BB1_7 Depth=1
	v_add_u32_e32 v8, s28, v15
	v_ashrrev_i32_e32 v9, 31, v8
	v_lshl_add_u64 v[8:9], v[8:9], 3, s[8:9]
	global_load_dwordx2 v[8:9], v[8:9], off
	s_waitcnt vmcnt(0)
	ds_write_b64 v16, v[8:9]
.LBB1_18:                               ;   in Loop: Header=BB1_7 Depth=1
	s_or_b64 exec, exec, s[6:7]
	v_cmp_lt_u32_e32 vcc, s28, v2
	s_and_b64 s[18:19], s[4:5], vcc
	s_waitcnt lgkmcnt(0)
	s_barrier
	s_and_saveexec_b64 s[6:7], s[18:19]
	s_cbranch_execz .LBB1_24
; %bb.19:                               ;   in Loop: Header=BB1_7 Depth=1
	v_add_u32_e32 v18, s28, v17
	v_mov_b32_e32 v7, v11
	v_cmp_gt_i32_e32 vcc, s15, v18
	s_and_saveexec_b64 s[18:19], vcc
	s_cbranch_execz .LBB1_22
; %bb.20:                               ;   in Loop: Header=BB1_7 Depth=1
	v_mov_b32_e32 v8, v11
	v_mov_b32_e32 v9, v7
	;; [unrolled: 1-line block ×4, first 2 shown]
	s_mov_b64 s[20:21], 0
	v_mov_b32_e32 v19, v1
	v_mov_b32_e32 v12, v0
.LBB1_21:                               ;   Parent Loop BB1_7 Depth=1
                                        ; =>  This Inner Loop Header: Depth=2
	v_ashrrev_i32_e32 v13, 31, v12
	v_lshl_add_u64 v[20:21], v[12:13], 3, s[8:9]
	global_load_dwordx2 v[22:23], v[20:21], off
	ds_read_b64 v[24:25], v19
	v_add_u32_e32 v18, s24, v18
	v_cmp_le_i32_e32 vcc, s15, v18
	v_add_u32_e32 v19, s27, v19
	v_add_u32_e32 v12, s26, v12
	s_waitcnt lgkmcnt(0)
	v_pk_mul_f32 v[26:27], v[8:9], v[24:25] op_sel:[0,1] op_sel_hi:[1,0]
	s_or_b64 s[20:21], vcc, s[20:21]
	v_pk_fma_f32 v[28:29], v[10:11], v[24:25], v[26:27] neg_lo:[0,0,1] neg_hi:[0,0,1]
	v_pk_fma_f32 v[24:25], v[10:11], v[24:25], v[26:27]
	s_nop 0
	v_mov_b32_e32 v29, v25
	s_waitcnt vmcnt(0)
	v_pk_add_f32 v[22:23], v[22:23], v[28:29] neg_lo:[0,1] neg_hi:[0,1]
	global_store_dwordx2 v[20:21], v[22:23], off
	s_andn2_b64 exec, exec, s[20:21]
	s_cbranch_execnz .LBB1_21
.LBB1_22:                               ;   in Loop: Header=BB1_7 Depth=1
	s_or_b64 exec, exec, s[18:19]
	s_cmp_lt_i32 s28, s14
	s_cselect_b64 s[18:19], -1, 0
	s_and_b64 s[18:19], s[2:3], s[18:19]
	s_and_b64 exec, exec, s[18:19]
	s_cbranch_execz .LBB1_24
; %bb.23:                               ;   in Loop: Header=BB1_7 Depth=1
	s_add_i32 s18, s28, 1
	s_mul_i32 s18, s18, s23
	v_add_u32_e32 v8, s18, v2
	v_ashrrev_i32_e32 v9, 31, v8
	v_lshl_add_u64 v[8:9], v[8:9], 3, s[8:9]
	global_load_dwordx2 v[10:11], v[8:9], off
	s_add_i32 s18, s25, s29
	v_mov_b32_e32 v12, s18
	ds_read_b64 v[12:13], v12 offset:8
	s_waitcnt lgkmcnt(0)
	v_pk_mul_f32 v[18:19], v[6:7], v[12:13] op_sel:[1,1] op_sel_hi:[1,0]
	s_nop 0
	v_pk_fma_f32 v[20:21], v[6:7], v[12:13], v[18:19] neg_lo:[0,0,1] neg_hi:[0,0,1]
	v_pk_fma_f32 v[6:7], v[6:7], v[12:13], v[18:19] op_sel_hi:[0,1,1]
	v_mov_b32_e32 v21, v7
	s_waitcnt vmcnt(0)
	v_pk_add_f32 v[6:7], v[10:11], v[20:21] neg_lo:[0,1] neg_hi:[0,1]
	global_store_dwordx2 v[8:9], v[6:7], off
	ds_write_b64 v14, v[6:7]
.LBB1_24:                               ;   in Loop: Header=BB1_7 Depth=1
	s_or_b64 exec, exec, s[6:7]
	v_cmp_ge_u32_e32 vcc, s28, v2
	s_and_b64 s[18:19], s[2:3], vcc
	s_and_saveexec_b64 s[6:7], s[18:19]
	s_cbranch_execz .LBB1_6
; %bb.25:                               ;   in Loop: Header=BB1_7 Depth=1
	ds_write_b64 v14, v[4:5]
	s_branch .LBB1_6
.LBB1_26:                               ;   in Loop: Header=BB1_7 Depth=1
	ds_read_b64 v[6:7], v14
	v_cmp_le_u32_e32 vcc, s28, v2
	s_and_b64 s[18:19], s[2:3], vcc
	s_and_b64 s[20:21], s[4:5], s[18:19]
	s_waitcnt lgkmcnt(0)
	v_pk_mul_f32 v[8:9], v[12:13], v[6:7] op_sel:[1,1] op_sel_hi:[1,0]
	s_nop 0
	v_pk_fma_f32 v[10:11], v[12:13], v[6:7], v[8:9] op_sel_hi:[0,1,1]
	v_pk_fma_f32 v[6:7], v[12:13], v[6:7], v[8:9] op_sel_hi:[0,1,1] neg_lo:[0,0,1] neg_hi:[0,0,1]
	s_and_saveexec_b64 s[18:19], s[20:21]
	s_cbranch_execz .LBB1_28
; %bb.27:                               ;   in Loop: Header=BB1_7 Depth=1
	s_mul_i32 s20, s28, s23
	v_add_u32_e32 v8, s20, v2
	v_ashrrev_i32_e32 v9, 31, v8
	v_mov_b32_e32 v7, v11
	v_lshl_add_u64 v[8:9], v[8:9], 3, s[8:9]
	global_store_dwordx2 v[8:9], v[6:7], off
.LBB1_28:                               ;   in Loop: Header=BB1_7 Depth=1
	s_or_b64 exec, exec, s[18:19]
	s_or_b64 exec, exec, s[6:7]
	s_and_saveexec_b64 s[6:7], s[16:17]
	s_cbranch_execnz .LBB1_17
	s_branch .LBB1_18
.LBB1_29:
	s_mov_b32 s22, 0
.LBB1_30:
	v_cmp_eq_u32_e32 vcc, 0, v2
	s_and_saveexec_b64 s[2:3], vcc
	s_cbranch_execz .LBB1_33
; %bb.31:
	s_lshl_b64 s[2:3], s[12:13], 2
	s_add_u32 s2, s10, s2
	s_addc_u32 s3, s11, s3
	v_mov_b32_e32 v0, 0
	global_load_dword v1, v0, s[2:3]
	s_cmp_gt_i32 s22, 0
	s_cselect_b64 s[4:5], -1, 0
	s_waitcnt vmcnt(0)
	v_or_b32_e32 v1, v1, v3
	v_cmp_eq_u32_e32 vcc, 0, v1
	s_and_b64 s[4:5], vcc, s[4:5]
	s_and_b64 exec, exec, s[4:5]
	s_cbranch_execz .LBB1_33
; %bb.32:
	s_load_dword s0, s[0:1], 0x34
	s_waitcnt lgkmcnt(0)
	s_add_i32 s0, s22, s0
	v_mov_b32_e32 v1, s0
	global_store_dword v0, v1, s[2:3]
.LBB1_33:
	s_endpgm
	.section	.rodata,"a",@progbits
	.p2align	6, 0x0
	.amdhsa_kernel _ZN9rocsolver6v33100L23getf2_npvt_panel_kernelI19rocblas_complex_numIfEiiPS3_EEvT0_S5_T2_lS5_lPT1_S5_S5_
		.amdhsa_group_segment_fixed_size 0
		.amdhsa_private_segment_fixed_size 0
		.amdhsa_kernarg_size 312
		.amdhsa_user_sgpr_count 2
		.amdhsa_user_sgpr_dispatch_ptr 0
		.amdhsa_user_sgpr_queue_ptr 0
		.amdhsa_user_sgpr_kernarg_segment_ptr 1
		.amdhsa_user_sgpr_dispatch_id 0
		.amdhsa_user_sgpr_kernarg_preload_length 0
		.amdhsa_user_sgpr_kernarg_preload_offset 0
		.amdhsa_user_sgpr_private_segment_size 0
		.amdhsa_uses_dynamic_stack 0
		.amdhsa_enable_private_segment 0
		.amdhsa_system_sgpr_workgroup_id_x 1
		.amdhsa_system_sgpr_workgroup_id_y 0
		.amdhsa_system_sgpr_workgroup_id_z 1
		.amdhsa_system_sgpr_workgroup_info 0
		.amdhsa_system_vgpr_workitem_id 1
		.amdhsa_next_free_vgpr 30
		.amdhsa_next_free_sgpr 30
		.amdhsa_accum_offset 32
		.amdhsa_reserve_vcc 1
		.amdhsa_float_round_mode_32 0
		.amdhsa_float_round_mode_16_64 0
		.amdhsa_float_denorm_mode_32 3
		.amdhsa_float_denorm_mode_16_64 3
		.amdhsa_dx10_clamp 1
		.amdhsa_ieee_mode 1
		.amdhsa_fp16_overflow 0
		.amdhsa_tg_split 0
		.amdhsa_exception_fp_ieee_invalid_op 0
		.amdhsa_exception_fp_denorm_src 0
		.amdhsa_exception_fp_ieee_div_zero 0
		.amdhsa_exception_fp_ieee_overflow 0
		.amdhsa_exception_fp_ieee_underflow 0
		.amdhsa_exception_fp_ieee_inexact 0
		.amdhsa_exception_int_div_zero 0
	.end_amdhsa_kernel
	.section	.text._ZN9rocsolver6v33100L23getf2_npvt_panel_kernelI19rocblas_complex_numIfEiiPS3_EEvT0_S5_T2_lS5_lPT1_S5_S5_,"axG",@progbits,_ZN9rocsolver6v33100L23getf2_npvt_panel_kernelI19rocblas_complex_numIfEiiPS3_EEvT0_S5_T2_lS5_lPT1_S5_S5_,comdat
.Lfunc_end1:
	.size	_ZN9rocsolver6v33100L23getf2_npvt_panel_kernelI19rocblas_complex_numIfEiiPS3_EEvT0_S5_T2_lS5_lPT1_S5_S5_, .Lfunc_end1-_ZN9rocsolver6v33100L23getf2_npvt_panel_kernelI19rocblas_complex_numIfEiiPS3_EEvT0_S5_T2_lS5_lPT1_S5_S5_
                                        ; -- End function
	.set _ZN9rocsolver6v33100L23getf2_npvt_panel_kernelI19rocblas_complex_numIfEiiPS3_EEvT0_S5_T2_lS5_lPT1_S5_S5_.num_vgpr, 30
	.set _ZN9rocsolver6v33100L23getf2_npvt_panel_kernelI19rocblas_complex_numIfEiiPS3_EEvT0_S5_T2_lS5_lPT1_S5_S5_.num_agpr, 0
	.set _ZN9rocsolver6v33100L23getf2_npvt_panel_kernelI19rocblas_complex_numIfEiiPS3_EEvT0_S5_T2_lS5_lPT1_S5_S5_.numbered_sgpr, 30
	.set _ZN9rocsolver6v33100L23getf2_npvt_panel_kernelI19rocblas_complex_numIfEiiPS3_EEvT0_S5_T2_lS5_lPT1_S5_S5_.num_named_barrier, 0
	.set _ZN9rocsolver6v33100L23getf2_npvt_panel_kernelI19rocblas_complex_numIfEiiPS3_EEvT0_S5_T2_lS5_lPT1_S5_S5_.private_seg_size, 0
	.set _ZN9rocsolver6v33100L23getf2_npvt_panel_kernelI19rocblas_complex_numIfEiiPS3_EEvT0_S5_T2_lS5_lPT1_S5_S5_.uses_vcc, 1
	.set _ZN9rocsolver6v33100L23getf2_npvt_panel_kernelI19rocblas_complex_numIfEiiPS3_EEvT0_S5_T2_lS5_lPT1_S5_S5_.uses_flat_scratch, 0
	.set _ZN9rocsolver6v33100L23getf2_npvt_panel_kernelI19rocblas_complex_numIfEiiPS3_EEvT0_S5_T2_lS5_lPT1_S5_S5_.has_dyn_sized_stack, 0
	.set _ZN9rocsolver6v33100L23getf2_npvt_panel_kernelI19rocblas_complex_numIfEiiPS3_EEvT0_S5_T2_lS5_lPT1_S5_S5_.has_recursion, 0
	.set _ZN9rocsolver6v33100L23getf2_npvt_panel_kernelI19rocblas_complex_numIfEiiPS3_EEvT0_S5_T2_lS5_lPT1_S5_S5_.has_indirect_call, 0
	.section	.AMDGPU.csdata,"",@progbits
; Kernel info:
; codeLenInByte = 1432
; TotalNumSgprs: 36
; NumVgprs: 30
; NumAgprs: 0
; TotalNumVgprs: 30
; ScratchSize: 0
; MemoryBound: 0
; FloatMode: 240
; IeeeMode: 1
; LDSByteSize: 0 bytes/workgroup (compile time only)
; SGPRBlocks: 4
; VGPRBlocks: 3
; NumSGPRsForWavesPerEU: 36
; NumVGPRsForWavesPerEU: 30
; AccumOffset: 32
; Occupancy: 8
; WaveLimiterHint : 0
; COMPUTE_PGM_RSRC2:SCRATCH_EN: 0
; COMPUTE_PGM_RSRC2:USER_SGPR: 2
; COMPUTE_PGM_RSRC2:TRAP_HANDLER: 0
; COMPUTE_PGM_RSRC2:TGID_X_EN: 1
; COMPUTE_PGM_RSRC2:TGID_Y_EN: 0
; COMPUTE_PGM_RSRC2:TGID_Z_EN: 1
; COMPUTE_PGM_RSRC2:TIDIG_COMP_CNT: 1
; COMPUTE_PGM_RSRC3_GFX90A:ACCUM_OFFSET: 7
; COMPUTE_PGM_RSRC3_GFX90A:TG_SPLIT: 0
	.section	.text._ZN9rocsolver6v33100L18getf2_panel_kernelI19rocblas_complex_numIfEiiPKPS3_EEvT0_S7_T2_lS7_lPS7_llPT1_S7_S7_S9_l,"axG",@progbits,_ZN9rocsolver6v33100L18getf2_panel_kernelI19rocblas_complex_numIfEiiPKPS3_EEvT0_S7_T2_lS7_lPS7_llPT1_S7_S7_S9_l,comdat
	.globl	_ZN9rocsolver6v33100L18getf2_panel_kernelI19rocblas_complex_numIfEiiPKPS3_EEvT0_S7_T2_lS7_lPS7_llPT1_S7_S7_S9_l ; -- Begin function _ZN9rocsolver6v33100L18getf2_panel_kernelI19rocblas_complex_numIfEiiPKPS3_EEvT0_S7_T2_lS7_lPS7_llPT1_S7_S7_S9_l
	.p2align	8
	.type	_ZN9rocsolver6v33100L18getf2_panel_kernelI19rocblas_complex_numIfEiiPKPS3_EEvT0_S7_T2_lS7_lPS7_llPT1_S7_S7_S9_l,@function
_ZN9rocsolver6v33100L18getf2_panel_kernelI19rocblas_complex_numIfEiiPKPS3_EEvT0_S7_T2_lS7_lPS7_llPT1_S7_S7_S9_l: ; @_ZN9rocsolver6v33100L18getf2_panel_kernelI19rocblas_complex_numIfEiiPKPS3_EEvT0_S7_T2_lS7_lPS7_llPT1_S7_S7_S9_l
; %bb.0:
	s_load_dwordx4 s[4:7], s[0:1], 0x8
	s_load_dwordx4 s[8:11], s[0:1], 0x50
	s_load_dword s34, s[0:1], 0x6c
	s_mov_b32 s14, s3
	s_ashr_i32 s15, s3, 31
	s_lshl_b64 s[2:3], s[14:15], 3
	s_waitcnt lgkmcnt(0)
	s_add_u32 s2, s4, s2
	s_addc_u32 s3, s5, s3
	s_load_dwordx2 s[2:3], s[2:3], 0x0
	s_cmp_eq_u64 s[8:9], 0
	s_cselect_b64 s[24:25], -1, 0
	s_mov_b64 s[26:27], 0
	s_and_b64 vcc, exec, s[24:25]
	s_cbranch_vccnz .LBB2_2
; %bb.1:
	s_mul_i32 s4, s10, s15
	s_mul_hi_u32 s5, s10, s14
	s_add_i32 s4, s5, s4
	s_mul_i32 s5, s11, s14
	s_add_i32 s5, s4, s5
	s_mul_i32 s4, s10, s14
	s_lshl_b64 s[4:5], s[4:5], 2
	s_add_u32 s26, s8, s4
	s_addc_u32 s27, s9, s5
.LBB2_2:
	s_load_dwordx2 s[28:29], s[0:1], 0x0
	s_and_b32 s8, s34, 0xffff
	s_lshl_b64 s[4:5], s[6:7], 3
	s_waitcnt lgkmcnt(0)
	s_add_u32 s30, s2, s4
	s_addc_u32 s31, s3, s5
	s_lshl_b32 s2, s8, 3
	s_add_i32 s33, s2, 8
	s_lshl_b32 s2, s29, 3
	v_bfe_u32 v3, v0, 10, 10
	s_add_i32 s38, s33, s2
	s_lshl_b32 s2, s8, 2
	v_and_b32_e32 v2, 0x3ff, v0
	s_add_i32 s10, s38, s2
	v_cmp_eq_u32_e64 s[12:13], 0, v3
                                        ; implicit-def: $vgpr18
	s_and_saveexec_b64 s[2:3], s[12:13]
	s_cbranch_execz .LBB2_6
; %bb.3:
	v_cmp_gt_i32_e32 vcc, s28, v2
	v_mov_b32_e32 v0, 0
	v_mov_b32_e32 v1, 0
	s_and_saveexec_b64 s[4:5], vcc
	s_cbranch_execz .LBB2_5
; %bb.4:
	v_lshlrev_b32_e32 v0, 3, v2
	v_mov_b32_e32 v1, 0
	v_lshl_add_u64 v[0:1], s[30:31], 0, v[0:1]
	flat_load_dwordx2 v[0:1], v[0:1]
.LBB2_5:
	s_or_b64 exec, exec, s[4:5]
	v_lshl_add_u32 v4, v2, 3, 8
	s_waitcnt vmcnt(0) lgkmcnt(0)
	v_cmp_gt_f32_e32 vcc, 0, v1
	ds_write_b64 v4, v[0:1]
	s_nop 0
	v_cndmask_b32_e64 v1, v1, -v1, vcc
	v_cmp_gt_f32_e32 vcc, 0, v0
	s_nop 1
	v_cndmask_b32_e64 v0, v0, -v0, vcc
	v_add_f32_e32 v18, v0, v1
	v_lshlrev_b32_e32 v0, 2, v2
	v_add_u32_e32 v1, s38, v0
	v_add_u32_e32 v0, s10, v0
	ds_write_b32 v1, v18
	ds_write_b32 v0, v2
.LBB2_6:
	s_or_b64 exec, exec, s[2:3]
	s_load_dwordx8 s[16:23], s[0:1], 0x28
	s_load_dword s39, s[0:1], 0x4c
	s_cmp_lt_i32 s29, 1
	s_cbranch_scc1 .LBB2_54
; %bb.7:
	s_load_dword s40, s[0:1], 0x18
	s_waitcnt lgkmcnt(0)
	s_mul_i32 s0, s20, s15
	s_mul_hi_u32 s1, s20, s14
	s_add_i32 s0, s1, s0
	s_mul_i32 s1, s21, s14
	s_add_i32 s1, s0, s1
	s_mul_i32 s0, s20, s14
	s_lshr_b32 s41, s34, 16
	s_lshl_b64 s[0:1], s[0:1], 2
	s_add_u32 s2, s16, s0
	s_addc_u32 s3, s17, s1
	s_lshl_b64 s[0:1], s[18:19], 2
	s_add_u32 s42, s2, s0
	s_addc_u32 s43, s3, s1
	s_lshr_b32 s44, s8, 1
	v_or_b32_e32 v0, v2, v3
	s_cmp_gt_u32 s8, 1
	v_cmp_eq_u32_e64 s[2:3], 0, v0
	v_lshlrev_b32_e32 v0, 3, v2
	v_add_u32_e32 v24, 2, v3
	s_cselect_b64 s[0:1], -1, 0
	v_add_u32_e32 v21, 8, v0
	v_add_u32_e32 v23, s33, v0
	v_mov_b32_e32 v0, 0
	v_mad_u64_u32 v[6:7], s[8:9], s40, v24, v[2:3]
	v_lshlrev_b32_e32 v1, 3, v3
	v_lshlrev_b32_e32 v4, 2, v2
	s_mov_b32 s17, 0
	v_cmp_gt_u32_e32 vcc, s29, v2
	v_mov_b32_e32 v5, v0
	v_add3_u32 v7, s33, v1, 16
	v_cndmask_b32_e64 v1, 0, 1, s[0:1]
	v_add_u32_e32 v19, s38, v4
	v_add_u32_e32 v20, s10, v4
	s_add_i32 s45, s39, 1
	v_cmp_gt_i32_e64 s[4:5], s28, v2
	s_and_b64 s[18:19], s[12:13], vcc
	v_mul_lo_u32 v22, s40, v2
	v_cmp_le_i32_e64 s[6:7], s28, v2
	s_add_i32 s46, s29, -1
	v_lshl_add_u64 v[4:5], s[26:27], 0, v[4:5]
	s_mul_i32 s47, s40, s41
	s_lshl_b32 s48, s41, 3
	v_cmp_ne_u32_e64 s[8:9], 1, v1
	v_mov_b32_e32 v25, s10
	v_mov_b32_e32 v1, v0
	s_mov_b32 s28, 0
	s_mov_b32 s16, s17
	s_branch .LBB2_9
.LBB2_8:                                ;   in Loop: Header=BB2_9 Depth=1
	s_or_b64 exec, exec, s[0:1]
	s_add_i32 s16, s16, 1
	v_add_u32_e32 v6, s40, v6
	s_cmp_eq_u32 s16, s29
	v_add_u32_e32 v7, 8, v7
	s_cbranch_scc1 .LBB2_55
.LBB2_9:                                ; =>This Loop Header: Depth=1
                                        ;     Child Loop BB2_16 Depth 2
                                        ;     Child Loop BB2_48 Depth 2
	s_and_b64 vcc, exec, s[8:9]
	s_mov_b32 s36, s44
	v_mov_b32_e32 v8, v2
	s_barrier
	s_cbranch_vccnz .LBB2_18
; %bb.10:                               ;   in Loop: Header=BB2_9 Depth=1
	v_cmp_gt_u32_e32 vcc, s36, v2
	s_and_b64 s[0:1], s[12:13], vcc
	s_and_saveexec_b64 s[10:11], s[0:1]
	s_cbranch_execz .LBB2_16
.LBB2_11:                               ;   in Loop: Header=BB2_9 Depth=1
	s_lshl_b32 s0, s36, 2
	v_add_u32_e32 v9, s0, v19
	ds_read_b32 v9, v9
	v_add_u32_e32 v10, s0, v20
	ds_read_b32 v10, v10
	s_waitcnt lgkmcnt(0)
	v_cmp_lt_f32_e64 s[20:21], v18, v9
	v_cmp_nlt_f32_e32 vcc, v18, v9
	s_and_saveexec_b64 s[34:35], vcc
	s_cbranch_execz .LBB2_13
; %bb.12:                               ;   in Loop: Header=BB2_9 Depth=1
	v_cmp_eq_f32_e32 vcc, v18, v9
	s_waitcnt lgkmcnt(0)
	v_cmp_gt_i32_e64 s[0:1], v8, v10
	s_and_b64 s[0:1], vcc, s[0:1]
	s_andn2_b64 s[20:21], s[20:21], exec
	s_and_b64 s[0:1], s[0:1], exec
	s_or_b64 s[20:21], s[20:21], s[0:1]
.LBB2_13:                               ;   in Loop: Header=BB2_9 Depth=1
	s_or_b64 exec, exec, s[34:35]
	s_and_saveexec_b64 s[0:1], s[20:21]
	s_cbranch_execz .LBB2_15
; %bb.14:                               ;   in Loop: Header=BB2_9 Depth=1
	v_mov_b32_e32 v18, v9
	s_waitcnt lgkmcnt(0)
	v_mov_b32_e32 v8, v10
	ds_write_b32 v19, v9
	ds_write_b32 v20, v10
.LBB2_15:                               ;   in Loop: Header=BB2_9 Depth=1
	s_or_b64 exec, exec, s[0:1]
.LBB2_16:                               ;   Parent Loop BB2_9 Depth=1
                                        ; =>  This Inner Loop Header: Depth=2
	s_or_b64 exec, exec, s[10:11]
	s_lshr_b32 s0, s36, 1
	s_cmp_lt_u32 s36, 2
	s_waitcnt lgkmcnt(0)
	s_barrier
	s_cbranch_scc1 .LBB2_18
; %bb.17:                               ;   in Loop: Header=BB2_16 Depth=2
	s_mov_b32 s36, s0
	v_cmp_gt_u32_e32 vcc, s36, v2
	s_and_b64 s[0:1], s[12:13], vcc
	s_and_saveexec_b64 s[10:11], s[0:1]
	s_cbranch_execnz .LBB2_11
	s_branch .LBB2_16
.LBB2_18:                               ;   in Loop: Header=BB2_9 Depth=1
	ds_read_b32 v10, v25
	s_waitcnt lgkmcnt(0)
	v_lshlrev_b32_e32 v8, 3, v10
	v_add_u32_e32 v8, 8, v8
	ds_read_b64 v[8:9], v8
	v_readfirstlane_b32 s20, v10
	s_waitcnt lgkmcnt(0)
	v_cmp_eq_f32_e32 vcc, 0, v8
	v_cmp_eq_f32_e64 s[0:1], 0, v9
	s_and_b64 s[0:1], vcc, s[0:1]
	s_andn2_b64 vcc, exec, s[0:1]
	s_cbranch_vccz .LBB2_21
; %bb.19:                               ;   in Loop: Header=BB2_9 Depth=1
	v_cmp_ngt_f32_e64 s[0:1], |v8|, |v9|
	s_and_b64 vcc, exec, s[0:1]
	s_cbranch_vccz .LBB2_23
; %bb.20:                               ;   in Loop: Header=BB2_9 Depth=1
	v_div_scale_f32 v10, s[0:1], v9, v9, v8
	v_rcp_f32_e32 v11, v10
	v_div_scale_f32 v12, vcc, v8, v9, v8
	v_fma_f32 v13, -v10, v11, 1.0
	v_fmac_f32_e32 v11, v13, v11
	v_mul_f32_e32 v13, v12, v11
	v_fma_f32 v14, -v10, v13, v12
	v_fmac_f32_e32 v13, v14, v11
	v_fma_f32 v10, -v10, v13, v12
	v_div_fmas_f32 v10, v10, v11, v13
	v_div_fixup_f32 v10, v10, v9, v8
	v_fma_f32 v11, v8, v10, v9
	v_div_scale_f32 v12, s[0:1], v11, v11, 1.0
	v_rcp_f32_e32 v13, v12
	s_nop 0
	v_fma_f32 v14, -v12, v13, 1.0
	v_fmac_f32_e32 v13, v14, v13
	v_div_scale_f32 v14, vcc, 1.0, v11, 1.0
	v_mul_f32_e32 v15, v14, v13
	v_fma_f32 v16, -v12, v15, v14
	v_fmac_f32_e32 v15, v16, v13
	v_fma_f32 v12, -v12, v15, v14
	v_div_fmas_f32 v12, v12, v13, v15
	v_div_fixup_f32 v11, v12, v11, 1.0
	v_mul_f32_e32 v10, v10, v11
	v_xor_b32_e32 v11, 0x80000000, v11
	s_cbranch_execz .LBB2_24
	s_branch .LBB2_25
.LBB2_21:                               ;   in Loop: Header=BB2_9 Depth=1
                                        ; implicit-def: $vgpr11
	s_branch .LBB2_26
.LBB2_22:                               ;   in Loop: Header=BB2_9 Depth=1
	v_mov_b32_e32 v8, v10
	v_mov_b32_e32 v9, v11
	s_and_saveexec_b64 s[0:1], s[2:3]
	s_cbranch_execnz .LBB2_27
	s_branch .LBB2_28
.LBB2_23:                               ;   in Loop: Header=BB2_9 Depth=1
                                        ; implicit-def: $vgpr11
.LBB2_24:                               ;   in Loop: Header=BB2_9 Depth=1
	v_div_scale_f32 v10, s[0:1], v8, v8, v9
	v_rcp_f32_e32 v11, v10
	v_div_scale_f32 v12, vcc, v9, v8, v9
	v_fma_f32 v13, -v10, v11, 1.0
	v_fmac_f32_e32 v11, v13, v11
	v_mul_f32_e32 v13, v12, v11
	v_fma_f32 v14, -v10, v13, v12
	v_fmac_f32_e32 v13, v14, v11
	v_fma_f32 v10, -v10, v13, v12
	v_div_fmas_f32 v10, v10, v11, v13
	v_div_fixup_f32 v11, v10, v8, v9
	v_fma_f32 v10, v9, v11, v8
	v_div_scale_f32 v12, s[0:1], v10, v10, 1.0
	v_rcp_f32_e32 v13, v12
	s_nop 0
	v_fma_f32 v14, -v12, v13, 1.0
	v_fmac_f32_e32 v13, v14, v13
	v_div_scale_f32 v14, vcc, 1.0, v10, 1.0
	v_mul_f32_e32 v15, v14, v13
	v_fma_f32 v16, -v12, v15, v14
	v_fmac_f32_e32 v15, v16, v13
	v_fma_f32 v12, -v12, v15, v14
	v_div_fmas_f32 v12, v12, v13, v15
	v_div_fixup_f32 v10, v12, v10, 1.0
	v_mul_f32_e64 v11, v11, -v10
.LBB2_25:                               ;   in Loop: Header=BB2_9 Depth=1
	s_cbranch_execnz .LBB2_22
.LBB2_26:                               ;   in Loop: Header=BB2_9 Depth=1
	s_add_i32 s0, s16, 1
	s_cmp_eq_u32 s28, 0
	s_cselect_b32 s28, s0, s28
	v_mov_b64_e32 v[10:11], v[8:9]
	s_mov_b32 s20, s16
	s_and_saveexec_b64 s[0:1], s[2:3]
	s_cbranch_execz .LBB2_28
.LBB2_27:                               ;   in Loop: Header=BB2_9 Depth=1
	s_lshl_b64 s[10:11], s[16:17], 2
	s_add_u32 s10, s42, s10
	s_addc_u32 s11, s43, s11
	s_add_i32 s21, s45, s20
	v_mov_b32_e32 v12, s21
	global_store_dword v0, v12, s[10:11]
.LBB2_28:                               ;   in Loop: Header=BB2_9 Depth=1
	s_or_b64 exec, exec, s[0:1]
	v_cmp_eq_u32_e32 vcc, s20, v2
	v_cmp_ne_u32_e64 s[0:1], s20, v2
	s_and_saveexec_b64 s[10:11], s[0:1]
	s_cbranch_execz .LBB2_32
; %bb.29:                               ;   in Loop: Header=BB2_9 Depth=1
	ds_read_b64 v[12:13], v21
	v_cmp_le_u32_e64 s[0:1], s16, v2
	s_and_b64 s[0:1], s[12:13], s[0:1]
	s_and_b64 s[34:35], s[4:5], s[0:1]
	s_waitcnt lgkmcnt(0)
	v_pk_mul_f32 v[14:15], v[10:11], v[12:13] op_sel:[1,1] op_sel_hi:[1,0]
	s_nop 0
	v_pk_fma_f32 v[8:9], v[10:11], v[12:13], v[14:15] op_sel_hi:[0,1,1] neg_lo:[0,0,1] neg_hi:[0,0,1]
	v_pk_fma_f32 v[10:11], v[10:11], v[12:13], v[14:15] op_sel_hi:[0,1,1]
	s_and_saveexec_b64 s[0:1], s[34:35]
	s_cbranch_execz .LBB2_31
; %bb.30:                               ;   in Loop: Header=BB2_9 Depth=1
	s_mul_i32 s21, s16, s40
	v_add_u32_e32 v12, s21, v2
	v_ashrrev_i32_e32 v13, 31, v12
	v_mov_b32_e32 v9, v11
	v_lshl_add_u64 v[12:13], v[12:13], 3, s[30:31]
	flat_store_dwordx2 v[12:13], v[8:9]
.LBB2_31:                               ;   in Loop: Header=BB2_9 Depth=1
	s_or_b64 exec, exec, s[0:1]
	v_mov_b32_e32 v9, v11
.LBB2_32:                               ;   in Loop: Header=BB2_9 Depth=1
	s_or_b64 exec, exec, s[10:11]
	v_add_u32_e32 v10, s20, v22
	v_ashrrev_i32_e32 v11, 31, v10
	s_and_saveexec_b64 s[10:11], s[18:19]
	s_cbranch_execz .LBB2_35
; %bb.33:                               ;   in Loop: Header=BB2_9 Depth=1
	v_lshl_add_u64 v[12:13], v[10:11], 3, s[30:31]
	flat_load_dwordx2 v[12:13], v[12:13]
	v_cmp_eq_u32_e64 s[0:1], s16, v2
	s_waitcnt vmcnt(0) lgkmcnt(0)
	ds_write_b64 v23, v[12:13]
	s_and_b64 exec, exec, s[0:1]
; %bb.34:                               ;   in Loop: Header=BB2_9 Depth=1
	ds_write_b64 v0, v[8:9]
.LBB2_35:                               ;   in Loop: Header=BB2_9 Depth=1
	s_or_b64 exec, exec, s[10:11]
	s_cmp_lg_u32 s20, s16
	s_cselect_b64 s[0:1], -1, 0
	s_and_b64 s[0:1], s[18:19], s[0:1]
	s_waitcnt lgkmcnt(0)
	s_barrier
	s_and_saveexec_b64 s[34:35], s[0:1]
	s_cbranch_execz .LBB2_43
; %bb.36:                               ;   in Loop: Header=BB2_9 Depth=1
	v_add_u32_e32 v12, s16, v22
	s_mov_b64 s[0:1], src_shared_base
	v_ashrrev_i32_e32 v13, 31, v12
	v_lshl_add_u64 v[12:13], v[12:13], 3, s[30:31]
	v_mov_b32_e32 v14, s1
	v_cmp_ne_u32_e64 s[0:1], s16, v2
	v_mov_b32_e32 v16, 0
	v_cmp_lt_u32_e64 s[10:11], s16, v2
	v_cndmask_b32_e64 v15, v14, v13, s[0:1]
	v_cndmask_b32_e64 v14, 0, v12, s[0:1]
	flat_load_dwordx2 v[14:15], v[14:15]
	v_mov_b32_e32 v17, v16
	s_and_saveexec_b64 s[36:37], s[10:11]
	s_cbranch_execz .LBB2_38
; %bb.37:                               ;   in Loop: Header=BB2_9 Depth=1
	ds_read_b64 v[16:17], v0
	ds_read_b64 v[26:27], v23
	s_waitcnt lgkmcnt(0)
	v_pk_mul_f32 v[28:29], v[26:27], v[16:17] op_sel:[1,1] op_sel_hi:[0,1]
	v_pk_mul_f32 v[30:31], v[26:27], v[16:17] op_sel_hi:[1,0]
	v_pk_fma_f32 v[16:17], v[26:27], v[16:17], v[28:29] op_sel_hi:[1,0,1]
	s_nop 0
	v_sub_f32_e32 v16, v30, v28
.LBB2_38:                               ;   in Loop: Header=BB2_9 Depth=1
	s_or_b64 exec, exec, s[36:37]
	s_waitcnt vmcnt(0) lgkmcnt(0)
	v_pk_add_f32 v[14:15], v[14:15], v[16:17] neg_lo:[0,1] neg_hi:[0,1]
	v_lshl_add_u64 v[10:11], v[10:11], 3, s[30:31]
	flat_store_dwordx2 v[10:11], v[14:15]
	ds_read_b64 v[10:11], v23
	s_add_i32 s10, s16, 1
	v_cmp_eq_u32_e64 s[10:11], s10, v2
	s_waitcnt lgkmcnt(0)
	flat_store_dwordx2 v[12:13], v[10:11]
	s_and_saveexec_b64 s[36:37], s[10:11]
	s_cbranch_execz .LBB2_40
; %bb.39:                               ;   in Loop: Header=BB2_9 Depth=1
	s_lshl_b32 s10, s20, 3
	s_add_i32 s10, s10, 8
	v_mov_b32_e32 v10, s10
	v_cmp_gt_f32_e64 s[10:11], 0, v14
	ds_write_b64 v10, v[14:15]
	s_nop 0
	v_cndmask_b32_e64 v10, v14, -v14, s[10:11]
	v_cmp_gt_f32_e64 s[10:11], 0, v15
	s_nop 1
	v_cndmask_b32_e64 v11, v15, -v15, s[10:11]
	s_lshl_b32 s10, s20, 2
	s_add_i32 s10, s38, s10
	v_add_f32_e32 v18, v11, v10
	v_mov_b32_e32 v10, s10
	ds_write_b32 v10, v18
.LBB2_40:                               ;   in Loop: Header=BB2_9 Depth=1
	s_or_b64 exec, exec, s[36:37]
	s_nor_b64 s[10:11], s[24:25], s[0:1]
	s_and_saveexec_b64 s[0:1], s[10:11]
	s_cbranch_execz .LBB2_42
; %bb.41:                               ;   in Loop: Header=BB2_9 Depth=1
	s_ashr_i32 s21, s20, 31
	s_lshl_b64 s[10:11], s[20:21], 2
	s_add_u32 s10, s26, s10
	s_addc_u32 s11, s27, s11
	global_load_dword v10, v0, s[10:11]
	global_load_dword v11, v[4:5], off
	s_waitcnt vmcnt(0)
	global_store_dword v[4:5], v10, off
	global_store_dword v0, v11, s[10:11]
.LBB2_42:                               ;   in Loop: Header=BB2_9 Depth=1
	s_or_b64 exec, exec, s[0:1]
.LBB2_43:                               ;   in Loop: Header=BB2_9 Depth=1
	s_or_b64 exec, exec, s[34:35]
	v_cmp_ge_u32_e64 s[10:11], s16, v2
	s_or_b64 s[0:1], s[6:7], s[10:11]
	s_nor_b64 s[20:21], s[0:1], vcc
	s_and_saveexec_b64 s[0:1], s[20:21]
	s_cbranch_execnz .LBB2_46
; %bb.44:                               ;   in Loop: Header=BB2_9 Depth=1
	s_or_b64 exec, exec, s[0:1]
	s_and_b64 s[10:11], s[12:13], s[10:11]
	s_and_saveexec_b64 s[0:1], s[10:11]
	s_cbranch_execnz .LBB2_52
.LBB2_45:                               ;   in Loop: Header=BB2_9 Depth=1
	s_or_b64 exec, exec, s[0:1]
	s_and_saveexec_b64 s[0:1], s[12:13]
	s_cbranch_execz .LBB2_8
	s_branch .LBB2_53
.LBB2_46:                               ;   in Loop: Header=BB2_9 Depth=1
	v_add_u32_e32 v16, s16, v24
	v_cmp_gt_i32_e32 vcc, s29, v16
	s_and_saveexec_b64 s[20:21], vcc
	s_cbranch_execz .LBB2_49
; %bb.47:                               ;   in Loop: Header=BB2_9 Depth=1
	v_mov_b32_e32 v10, v9
	v_mov_b32_e32 v11, v9
	;; [unrolled: 1-line block ×4, first 2 shown]
	s_mov_b64 s[34:35], 0
	v_mov_b32_e32 v17, v7
	v_mov_b32_e32 v14, v6
.LBB2_48:                               ;   Parent Loop BB2_9 Depth=1
                                        ; =>  This Inner Loop Header: Depth=2
	v_ashrrev_i32_e32 v15, 31, v14
	v_lshl_add_u64 v[26:27], v[14:15], 3, s[30:31]
	flat_load_dwordx2 v[28:29], v[26:27]
	ds_read_b64 v[30:31], v17
	v_add_u32_e32 v16, s41, v16
	v_cmp_le_i32_e32 vcc, s29, v16
	v_add_u32_e32 v17, s48, v17
	v_add_u32_e32 v14, s47, v14
	s_waitcnt lgkmcnt(0)
	v_pk_mul_f32 v[32:33], v[10:11], v[30:31] op_sel:[0,1] op_sel_hi:[1,0]
	s_or_b64 s[34:35], vcc, s[34:35]
	v_pk_fma_f32 v[34:35], v[12:13], v[30:31], v[32:33] neg_lo:[0,0,1] neg_hi:[0,0,1]
	v_pk_fma_f32 v[30:31], v[12:13], v[30:31], v[32:33]
	s_nop 0
	v_mov_b32_e32 v35, v31
	s_waitcnt vmcnt(0)
	v_pk_add_f32 v[28:29], v[28:29], v[34:35] neg_lo:[0,1] neg_hi:[0,1]
	flat_store_dwordx2 v[26:27], v[28:29]
	s_andn2_b64 exec, exec, s[34:35]
	s_cbranch_execnz .LBB2_48
.LBB2_49:                               ;   in Loop: Header=BB2_9 Depth=1
	s_or_b64 exec, exec, s[20:21]
	s_cmp_lt_i32 s16, s46
	s_cselect_b64 s[20:21], -1, 0
	s_and_b64 s[34:35], s[12:13], s[20:21]
	s_and_saveexec_b64 s[20:21], s[34:35]
	s_cbranch_execz .LBB2_51
; %bb.50:                               ;   in Loop: Header=BB2_9 Depth=1
	s_add_i32 s34, s16, 1
	s_mul_i32 s34, s34, s40
	v_add_u32_e32 v10, s34, v2
	v_ashrrev_i32_e32 v11, 31, v10
	v_lshl_add_u64 v[10:11], v[10:11], 3, s[30:31]
	flat_load_dwordx2 v[12:13], v[10:11]
	s_lshl_b32 s34, s16, 3
	s_add_i32 s34, s33, s34
	v_mov_b32_e32 v14, s34
	ds_read_b64 v[14:15], v14 offset:8
	s_waitcnt lgkmcnt(0)
	v_pk_mul_f32 v[16:17], v[8:9], v[14:15] op_sel:[1,1] op_sel_hi:[1,0]
	s_nop 0
	v_pk_fma_f32 v[26:27], v[8:9], v[14:15], v[16:17] neg_lo:[0,0,1] neg_hi:[0,0,1]
	v_pk_fma_f32 v[8:9], v[8:9], v[14:15], v[16:17] op_sel_hi:[0,1,1]
	v_mov_b32_e32 v27, v9
	s_waitcnt vmcnt(0)
	v_pk_add_f32 v[8:9], v[12:13], v[26:27] neg_lo:[0,1] neg_hi:[0,1]
	s_nop 0
	v_cmp_gt_f32_e32 vcc, 0, v9
	flat_store_dwordx2 v[10:11], v[8:9]
	ds_write_b64 v21, v[8:9]
	v_cndmask_b32_e64 v9, v9, -v9, vcc
	v_cmp_gt_f32_e32 vcc, 0, v8
	s_nop 1
	v_cndmask_b32_e64 v8, v8, -v8, vcc
	v_add_f32_e32 v18, v8, v9
	ds_write_b32 v19, v18
.LBB2_51:                               ;   in Loop: Header=BB2_9 Depth=1
	s_or_b64 exec, exec, s[20:21]
	s_or_b64 exec, exec, s[0:1]
	s_and_b64 s[10:11], s[12:13], s[10:11]
	s_and_saveexec_b64 s[0:1], s[10:11]
	s_cbranch_execz .LBB2_45
.LBB2_52:                               ;   in Loop: Header=BB2_9 Depth=1
	v_mov_b32_e32 v18, 0
	ds_write_b64 v21, v[0:1]
	ds_write_b32 v19, v0
	s_or_b64 exec, exec, s[0:1]
	s_and_saveexec_b64 s[0:1], s[12:13]
	s_cbranch_execz .LBB2_8
.LBB2_53:                               ;   in Loop: Header=BB2_9 Depth=1
	ds_write_b32 v20, v2
	s_branch .LBB2_8
.LBB2_54:
	s_mov_b32 s28, 0
.LBB2_55:
	v_cmp_eq_u32_e32 vcc, 0, v2
	s_and_saveexec_b64 s[0:1], vcc
	s_cbranch_execz .LBB2_58
; %bb.56:
	s_lshl_b64 s[0:1], s[14:15], 2
	s_waitcnt lgkmcnt(0)
	s_add_u32 s0, s22, s0
	s_addc_u32 s1, s23, s1
	v_mov_b32_e32 v0, 0
	global_load_dword v1, v0, s[0:1]
	s_cmp_gt_i32 s28, 0
	s_cselect_b64 s[2:3], -1, 0
	s_waitcnt vmcnt(0)
	v_or_b32_e32 v1, v1, v3
	v_cmp_eq_u32_e32 vcc, 0, v1
	s_and_b64 s[2:3], vcc, s[2:3]
	s_and_b64 exec, exec, s[2:3]
	s_cbranch_execz .LBB2_58
; %bb.57:
	s_add_i32 s2, s28, s39
	v_mov_b32_e32 v1, s2
	global_store_dword v0, v1, s[0:1]
.LBB2_58:
	s_endpgm
	.section	.rodata,"a",@progbits
	.p2align	6, 0x0
	.amdhsa_kernel _ZN9rocsolver6v33100L18getf2_panel_kernelI19rocblas_complex_numIfEiiPKPS3_EEvT0_S7_T2_lS7_lPS7_llPT1_S7_S7_S9_l
		.amdhsa_group_segment_fixed_size 8
		.amdhsa_private_segment_fixed_size 0
		.amdhsa_kernarg_size 352
		.amdhsa_user_sgpr_count 2
		.amdhsa_user_sgpr_dispatch_ptr 0
		.amdhsa_user_sgpr_queue_ptr 0
		.amdhsa_user_sgpr_kernarg_segment_ptr 1
		.amdhsa_user_sgpr_dispatch_id 0
		.amdhsa_user_sgpr_kernarg_preload_length 0
		.amdhsa_user_sgpr_kernarg_preload_offset 0
		.amdhsa_user_sgpr_private_segment_size 0
		.amdhsa_uses_dynamic_stack 0
		.amdhsa_enable_private_segment 0
		.amdhsa_system_sgpr_workgroup_id_x 1
		.amdhsa_system_sgpr_workgroup_id_y 0
		.amdhsa_system_sgpr_workgroup_id_z 1
		.amdhsa_system_sgpr_workgroup_info 0
		.amdhsa_system_vgpr_workitem_id 1
		.amdhsa_next_free_vgpr 36
		.amdhsa_next_free_sgpr 49
		.amdhsa_accum_offset 36
		.amdhsa_reserve_vcc 1
		.amdhsa_float_round_mode_32 0
		.amdhsa_float_round_mode_16_64 0
		.amdhsa_float_denorm_mode_32 3
		.amdhsa_float_denorm_mode_16_64 3
		.amdhsa_dx10_clamp 1
		.amdhsa_ieee_mode 1
		.amdhsa_fp16_overflow 0
		.amdhsa_tg_split 0
		.amdhsa_exception_fp_ieee_invalid_op 0
		.amdhsa_exception_fp_denorm_src 0
		.amdhsa_exception_fp_ieee_div_zero 0
		.amdhsa_exception_fp_ieee_overflow 0
		.amdhsa_exception_fp_ieee_underflow 0
		.amdhsa_exception_fp_ieee_inexact 0
		.amdhsa_exception_int_div_zero 0
	.end_amdhsa_kernel
	.section	.text._ZN9rocsolver6v33100L18getf2_panel_kernelI19rocblas_complex_numIfEiiPKPS3_EEvT0_S7_T2_lS7_lPS7_llPT1_S7_S7_S9_l,"axG",@progbits,_ZN9rocsolver6v33100L18getf2_panel_kernelI19rocblas_complex_numIfEiiPKPS3_EEvT0_S7_T2_lS7_lPS7_llPT1_S7_S7_S9_l,comdat
.Lfunc_end2:
	.size	_ZN9rocsolver6v33100L18getf2_panel_kernelI19rocblas_complex_numIfEiiPKPS3_EEvT0_S7_T2_lS7_lPS7_llPT1_S7_S7_S9_l, .Lfunc_end2-_ZN9rocsolver6v33100L18getf2_panel_kernelI19rocblas_complex_numIfEiiPKPS3_EEvT0_S7_T2_lS7_lPS7_llPT1_S7_S7_S9_l
                                        ; -- End function
	.set _ZN9rocsolver6v33100L18getf2_panel_kernelI19rocblas_complex_numIfEiiPKPS3_EEvT0_S7_T2_lS7_lPS7_llPT1_S7_S7_S9_l.num_vgpr, 36
	.set _ZN9rocsolver6v33100L18getf2_panel_kernelI19rocblas_complex_numIfEiiPKPS3_EEvT0_S7_T2_lS7_lPS7_llPT1_S7_S7_S9_l.num_agpr, 0
	.set _ZN9rocsolver6v33100L18getf2_panel_kernelI19rocblas_complex_numIfEiiPKPS3_EEvT0_S7_T2_lS7_lPS7_llPT1_S7_S7_S9_l.numbered_sgpr, 49
	.set _ZN9rocsolver6v33100L18getf2_panel_kernelI19rocblas_complex_numIfEiiPKPS3_EEvT0_S7_T2_lS7_lPS7_llPT1_S7_S7_S9_l.num_named_barrier, 0
	.set _ZN9rocsolver6v33100L18getf2_panel_kernelI19rocblas_complex_numIfEiiPKPS3_EEvT0_S7_T2_lS7_lPS7_llPT1_S7_S7_S9_l.private_seg_size, 0
	.set _ZN9rocsolver6v33100L18getf2_panel_kernelI19rocblas_complex_numIfEiiPKPS3_EEvT0_S7_T2_lS7_lPS7_llPT1_S7_S7_S9_l.uses_vcc, 1
	.set _ZN9rocsolver6v33100L18getf2_panel_kernelI19rocblas_complex_numIfEiiPKPS3_EEvT0_S7_T2_lS7_lPS7_llPT1_S7_S7_S9_l.uses_flat_scratch, 0
	.set _ZN9rocsolver6v33100L18getf2_panel_kernelI19rocblas_complex_numIfEiiPKPS3_EEvT0_S7_T2_lS7_lPS7_llPT1_S7_S7_S9_l.has_dyn_sized_stack, 0
	.set _ZN9rocsolver6v33100L18getf2_panel_kernelI19rocblas_complex_numIfEiiPKPS3_EEvT0_S7_T2_lS7_lPS7_llPT1_S7_S7_S9_l.has_recursion, 0
	.set _ZN9rocsolver6v33100L18getf2_panel_kernelI19rocblas_complex_numIfEiiPKPS3_EEvT0_S7_T2_lS7_lPS7_llPT1_S7_S7_S9_l.has_indirect_call, 0
	.section	.AMDGPU.csdata,"",@progbits
; Kernel info:
; codeLenInByte = 2484
; TotalNumSgprs: 55
; NumVgprs: 36
; NumAgprs: 0
; TotalNumVgprs: 36
; ScratchSize: 0
; MemoryBound: 0
; FloatMode: 240
; IeeeMode: 1
; LDSByteSize: 8 bytes/workgroup (compile time only)
; SGPRBlocks: 6
; VGPRBlocks: 4
; NumSGPRsForWavesPerEU: 55
; NumVGPRsForWavesPerEU: 36
; AccumOffset: 36
; Occupancy: 8
; WaveLimiterHint : 1
; COMPUTE_PGM_RSRC2:SCRATCH_EN: 0
; COMPUTE_PGM_RSRC2:USER_SGPR: 2
; COMPUTE_PGM_RSRC2:TRAP_HANDLER: 0
; COMPUTE_PGM_RSRC2:TGID_X_EN: 1
; COMPUTE_PGM_RSRC2:TGID_Y_EN: 0
; COMPUTE_PGM_RSRC2:TGID_Z_EN: 1
; COMPUTE_PGM_RSRC2:TIDIG_COMP_CNT: 1
; COMPUTE_PGM_RSRC3_GFX90A:ACCUM_OFFSET: 8
; COMPUTE_PGM_RSRC3_GFX90A:TG_SPLIT: 0
	.section	.text._ZN9rocsolver6v33100L23getf2_npvt_panel_kernelI19rocblas_complex_numIfEiiPKPS3_EEvT0_S7_T2_lS7_lPT1_S7_S7_,"axG",@progbits,_ZN9rocsolver6v33100L23getf2_npvt_panel_kernelI19rocblas_complex_numIfEiiPKPS3_EEvT0_S7_T2_lS7_lPT1_S7_S7_,comdat
	.globl	_ZN9rocsolver6v33100L23getf2_npvt_panel_kernelI19rocblas_complex_numIfEiiPKPS3_EEvT0_S7_T2_lS7_lPT1_S7_S7_ ; -- Begin function _ZN9rocsolver6v33100L23getf2_npvt_panel_kernelI19rocblas_complex_numIfEiiPKPS3_EEvT0_S7_T2_lS7_lPT1_S7_S7_
	.p2align	8
	.type	_ZN9rocsolver6v33100L23getf2_npvt_panel_kernelI19rocblas_complex_numIfEiiPKPS3_EEvT0_S7_T2_lS7_lPT1_S7_S7_,@function
_ZN9rocsolver6v33100L23getf2_npvt_panel_kernelI19rocblas_complex_numIfEiiPKPS3_EEvT0_S7_T2_lS7_lPT1_S7_S7_: ; @_ZN9rocsolver6v33100L23getf2_npvt_panel_kernelI19rocblas_complex_numIfEiiPKPS3_EEvT0_S7_T2_lS7_lPT1_S7_S7_
; %bb.0:
	s_load_dwordx4 s[4:7], s[0:1], 0x8
	s_load_dwordx2 s[10:11], s[0:1], 0x0
	s_mov_b32 s8, s3
	s_ashr_i32 s9, s3, 31
	s_lshl_b64 s[2:3], s[8:9], 3
	s_waitcnt lgkmcnt(0)
	s_add_u32 s2, s4, s2
	s_addc_u32 s3, s5, s3
	s_load_dwordx2 s[2:3], s[2:3], 0x0
	s_lshl_b64 s[4:5], s[6:7], 3
	s_load_dword s14, s[0:1], 0x44
	v_bfe_u32 v3, v0, 10, 10
	v_and_b32_e32 v2, 0x3ff, v0
	s_waitcnt lgkmcnt(0)
	s_add_u32 s12, s2, s4
	s_addc_u32 s13, s3, s5
	v_cmp_eq_u32_e64 s[2:3], 0, v3
	s_and_saveexec_b64 s[4:5], s[2:3]
	s_cbranch_execz .LBB3_4
; %bb.1:
	v_cmp_gt_i32_e32 vcc, s10, v2
	v_mov_b32_e32 v0, 0
	v_mov_b32_e32 v1, 0
	s_and_saveexec_b64 s[6:7], vcc
	s_cbranch_execz .LBB3_3
; %bb.2:
	v_lshlrev_b32_e32 v0, 3, v2
	v_mov_b32_e32 v1, 0
	v_lshl_add_u64 v[0:1], s[12:13], 0, v[0:1]
	flat_load_dwordx2 v[0:1], v[0:1]
.LBB3_3:
	s_or_b64 exec, exec, s[6:7]
	v_lshl_add_u32 v4, v2, 3, 0
	s_waitcnt vmcnt(0) lgkmcnt(0)
	ds_write_b64 v4, v[0:1]
.LBB3_4:
	s_or_b64 exec, exec, s[4:5]
	s_cmp_lt_i32 s11, 1
	s_cbranch_scc1 .LBB3_29
; %bb.5:
	s_load_dword s21, s[0:1], 0x18
	s_and_b32 s4, s14, 0xffff
	s_lshl_b32 s4, s4, 3
	s_add_i32 s23, s4, 0
	v_lshlrev_b32_e32 v0, 3, v2
	v_add_u32_e32 v17, 2, v3
	v_add_u32_e32 v14, 0, v0
	;; [unrolled: 1-line block ×3, first 2 shown]
	s_waitcnt lgkmcnt(0)
	v_mad_u64_u32 v[0:1], s[6:7], s21, v17, v[2:3]
	s_lshr_b32 s22, s14, 16
	v_cmp_gt_u32_e32 vcc, s11, v2
	v_lshlrev_b32_e32 v1, 3, v3
	v_mov_b32_e32 v4, 0
	s_mov_b32 s20, 0
	v_cmp_gt_i32_e64 s[4:5], s10, v2
	s_and_b64 s[14:15], s[2:3], vcc
	v_mul_lo_u32 v15, s21, v2
	s_add_i32 s10, s11, -1
	s_mul_i32 s24, s21, s22
	v_add3_u32 v1, s23, v1, 16
	s_lshl_b32 s25, s22, 3
	v_mov_b32_e32 v5, v4
	s_mov_b32 s26, 0
	s_branch .LBB3_7
.LBB3_6:                                ;   in Loop: Header=BB3_7 Depth=1
	s_or_b64 exec, exec, s[6:7]
	s_add_i32 s26, s26, 1
	v_add_u32_e32 v0, s21, v0
	s_cmp_eq_u32 s26, s11
	v_add_u32_e32 v1, 8, v1
	s_cbranch_scc1 .LBB3_30
.LBB3_7:                                ; =>This Loop Header: Depth=1
                                        ;     Child Loop BB3_21 Depth 2
	s_lshl_b32 s27, s26, 3
	s_add_i32 s6, s27, 0
	v_mov_b32_e32 v6, s6
	s_barrier
	ds_read_b64 v[8:9], v6
	s_waitcnt lgkmcnt(0)
	v_cmp_eq_f32_e32 vcc, 0, v8
	v_cmp_eq_f32_e64 s[6:7], 0, v9
	s_and_b64 s[6:7], vcc, s[6:7]
	s_cmp_eq_u32 s20, 0
	s_cselect_b64 s[16:17], -1, 0
	s_and_b64 s[6:7], s[6:7], s[16:17]
	s_andn2_b64 vcc, exec, s[6:7]
	s_cbranch_vccz .LBB3_10
; %bb.8:                                ;   in Loop: Header=BB3_7 Depth=1
	v_cmp_ngt_f32_e64 s[6:7], |v8|, |v9|
	s_and_b64 vcc, exec, s[6:7]
	s_cbranch_vccz .LBB3_11
; %bb.9:                                ;   in Loop: Header=BB3_7 Depth=1
	v_div_scale_f32 v6, s[6:7], v9, v9, v8
	v_rcp_f32_e32 v7, v6
	v_div_scale_f32 v10, vcc, v8, v9, v8
	v_fma_f32 v11, -v6, v7, 1.0
	v_fmac_f32_e32 v7, v11, v7
	v_mul_f32_e32 v11, v10, v7
	v_fma_f32 v12, -v6, v11, v10
	v_fmac_f32_e32 v11, v12, v7
	v_fma_f32 v6, -v6, v11, v10
	v_div_fmas_f32 v6, v6, v7, v11
	v_div_fixup_f32 v6, v6, v9, v8
	v_fma_f32 v7, v8, v6, v9
	v_div_scale_f32 v10, s[6:7], v7, v7, 1.0
	v_rcp_f32_e32 v11, v10
	s_nop 0
	v_fma_f32 v12, -v10, v11, 1.0
	v_fmac_f32_e32 v11, v12, v11
	v_div_scale_f32 v12, vcc, 1.0, v7, 1.0
	v_mul_f32_e32 v13, v12, v11
	v_fma_f32 v18, -v10, v13, v12
	v_fmac_f32_e32 v13, v18, v11
	v_fma_f32 v10, -v10, v13, v12
	v_div_fmas_f32 v10, v10, v11, v13
	v_div_fixup_f32 v7, v10, v7, 1.0
	v_mul_f32_e32 v10, v6, v7
	v_xor_b32_e32 v11, 0x80000000, v7
	v_mov_b32_e32 v6, v10
	v_mov_b64_e32 v[12:13], v[10:11]
	s_cbranch_execz .LBB3_12
	s_branch .LBB3_13
.LBB3_10:                               ;   in Loop: Header=BB3_7 Depth=1
                                        ; implicit-def: $vgpr11
                                        ; implicit-def: $vgpr6
                                        ; implicit-def: $vgpr12_vgpr13
	s_branch .LBB3_14
.LBB3_11:                               ;   in Loop: Header=BB3_7 Depth=1
                                        ; implicit-def: $vgpr11
                                        ; implicit-def: $vgpr6
                                        ; implicit-def: $vgpr12_vgpr13
.LBB3_12:                               ;   in Loop: Header=BB3_7 Depth=1
	v_div_scale_f32 v6, s[6:7], v8, v8, v9
	v_rcp_f32_e32 v7, v6
	v_div_scale_f32 v10, vcc, v9, v8, v9
	v_fma_f32 v11, -v6, v7, 1.0
	v_fmac_f32_e32 v7, v11, v7
	v_mul_f32_e32 v11, v10, v7
	v_fma_f32 v12, -v6, v11, v10
	v_fmac_f32_e32 v11, v12, v7
	v_fma_f32 v6, -v6, v11, v10
	v_div_fmas_f32 v6, v6, v7, v11
	v_div_fixup_f32 v6, v6, v8, v9
	v_fma_f32 v7, v9, v6, v8
	v_div_scale_f32 v10, s[6:7], v7, v7, 1.0
	v_rcp_f32_e32 v11, v10
	s_nop 0
	v_fma_f32 v12, -v10, v11, 1.0
	v_fmac_f32_e32 v11, v12, v11
	v_div_scale_f32 v12, vcc, 1.0, v7, 1.0
	v_mul_f32_e32 v13, v12, v11
	v_fma_f32 v18, -v10, v13, v12
	v_fmac_f32_e32 v13, v18, v11
	v_fma_f32 v10, -v10, v13, v12
	v_div_fmas_f32 v10, v10, v11, v13
	v_div_fixup_f32 v10, v10, v7, 1.0
	v_mul_f32_e64 v11, v6, -v10
	v_mov_b32_e32 v6, v10
	v_mov_b64_e32 v[12:13], v[10:11]
.LBB3_13:                               ;   in Loop: Header=BB3_7 Depth=1
	s_cbranch_execnz .LBB3_15
.LBB3_14:                               ;   in Loop: Header=BB3_7 Depth=1
	s_add_i32 s20, s26, 1
	v_mov_b64_e32 v[12:13], v[8:9]
	v_mov_b32_e32 v6, v8
	v_mov_b32_e32 v11, v9
.LBB3_15:                               ;   in Loop: Header=BB3_7 Depth=1
	v_cmp_ne_u32_e32 vcc, s26, v2
	s_and_saveexec_b64 s[6:7], vcc
	s_cbranch_execnz .LBB3_26
; %bb.16:                               ;   in Loop: Header=BB3_7 Depth=1
	s_or_b64 exec, exec, s[6:7]
	s_and_saveexec_b64 s[6:7], s[14:15]
	s_cbranch_execz .LBB3_18
.LBB3_17:                               ;   in Loop: Header=BB3_7 Depth=1
	v_add_u32_e32 v8, s26, v15
	v_ashrrev_i32_e32 v9, 31, v8
	v_lshl_add_u64 v[8:9], v[8:9], 3, s[12:13]
	flat_load_dwordx2 v[8:9], v[8:9]
	s_waitcnt vmcnt(0) lgkmcnt(0)
	ds_write_b64 v16, v[8:9]
.LBB3_18:                               ;   in Loop: Header=BB3_7 Depth=1
	s_or_b64 exec, exec, s[6:7]
	v_cmp_lt_u32_e32 vcc, s26, v2
	s_and_b64 s[16:17], s[4:5], vcc
	s_waitcnt lgkmcnt(0)
	s_barrier
	s_and_saveexec_b64 s[6:7], s[16:17]
	s_cbranch_execz .LBB3_24
; %bb.19:                               ;   in Loop: Header=BB3_7 Depth=1
	v_add_u32_e32 v18, s26, v17
	v_mov_b32_e32 v7, v11
	v_cmp_gt_i32_e32 vcc, s11, v18
	s_and_saveexec_b64 s[16:17], vcc
	s_cbranch_execz .LBB3_22
; %bb.20:                               ;   in Loop: Header=BB3_7 Depth=1
	v_mov_b32_e32 v8, v11
	v_mov_b32_e32 v9, v7
	;; [unrolled: 1-line block ×4, first 2 shown]
	s_mov_b64 s[18:19], 0
	v_mov_b32_e32 v19, v1
	v_mov_b32_e32 v12, v0
.LBB3_21:                               ;   Parent Loop BB3_7 Depth=1
                                        ; =>  This Inner Loop Header: Depth=2
	v_ashrrev_i32_e32 v13, 31, v12
	v_lshl_add_u64 v[20:21], v[12:13], 3, s[12:13]
	flat_load_dwordx2 v[22:23], v[20:21]
	ds_read_b64 v[24:25], v19
	v_add_u32_e32 v18, s22, v18
	v_cmp_le_i32_e32 vcc, s11, v18
	v_add_u32_e32 v19, s25, v19
	v_add_u32_e32 v12, s24, v12
	s_waitcnt lgkmcnt(0)
	v_pk_mul_f32 v[26:27], v[8:9], v[24:25] op_sel:[0,1] op_sel_hi:[1,0]
	s_or_b64 s[18:19], vcc, s[18:19]
	v_pk_fma_f32 v[28:29], v[10:11], v[24:25], v[26:27] neg_lo:[0,0,1] neg_hi:[0,0,1]
	v_pk_fma_f32 v[24:25], v[10:11], v[24:25], v[26:27]
	s_nop 0
	v_mov_b32_e32 v29, v25
	s_waitcnt vmcnt(0)
	v_pk_add_f32 v[22:23], v[22:23], v[28:29] neg_lo:[0,1] neg_hi:[0,1]
	flat_store_dwordx2 v[20:21], v[22:23]
	s_andn2_b64 exec, exec, s[18:19]
	s_cbranch_execnz .LBB3_21
.LBB3_22:                               ;   in Loop: Header=BB3_7 Depth=1
	s_or_b64 exec, exec, s[16:17]
	s_cmp_lt_i32 s26, s10
	s_cselect_b64 s[16:17], -1, 0
	s_and_b64 s[16:17], s[2:3], s[16:17]
	s_and_b64 exec, exec, s[16:17]
	s_cbranch_execz .LBB3_24
; %bb.23:                               ;   in Loop: Header=BB3_7 Depth=1
	s_add_i32 s16, s26, 1
	s_mul_i32 s16, s16, s21
	v_add_u32_e32 v8, s16, v2
	v_ashrrev_i32_e32 v9, 31, v8
	v_lshl_add_u64 v[8:9], v[8:9], 3, s[12:13]
	flat_load_dwordx2 v[10:11], v[8:9]
	s_add_i32 s16, s23, s27
	v_mov_b32_e32 v12, s16
	ds_read_b64 v[12:13], v12 offset:8
	s_waitcnt lgkmcnt(0)
	v_pk_mul_f32 v[18:19], v[6:7], v[12:13] op_sel:[1,1] op_sel_hi:[1,0]
	s_nop 0
	v_pk_fma_f32 v[20:21], v[6:7], v[12:13], v[18:19] neg_lo:[0,0,1] neg_hi:[0,0,1]
	v_pk_fma_f32 v[6:7], v[6:7], v[12:13], v[18:19] op_sel_hi:[0,1,1]
	v_mov_b32_e32 v21, v7
	s_waitcnt vmcnt(0)
	v_pk_add_f32 v[6:7], v[10:11], v[20:21] neg_lo:[0,1] neg_hi:[0,1]
	flat_store_dwordx2 v[8:9], v[6:7]
	ds_write_b64 v14, v[6:7]
.LBB3_24:                               ;   in Loop: Header=BB3_7 Depth=1
	s_or_b64 exec, exec, s[6:7]
	v_cmp_ge_u32_e32 vcc, s26, v2
	s_and_b64 s[16:17], s[2:3], vcc
	s_and_saveexec_b64 s[6:7], s[16:17]
	s_cbranch_execz .LBB3_6
; %bb.25:                               ;   in Loop: Header=BB3_7 Depth=1
	ds_write_b64 v14, v[4:5]
	s_branch .LBB3_6
.LBB3_26:                               ;   in Loop: Header=BB3_7 Depth=1
	ds_read_b64 v[6:7], v14
	v_cmp_le_u32_e32 vcc, s26, v2
	s_and_b64 s[16:17], s[2:3], vcc
	s_and_b64 s[18:19], s[4:5], s[16:17]
	s_waitcnt lgkmcnt(0)
	v_pk_mul_f32 v[8:9], v[12:13], v[6:7] op_sel:[1,1] op_sel_hi:[1,0]
	s_nop 0
	v_pk_fma_f32 v[10:11], v[12:13], v[6:7], v[8:9] op_sel_hi:[0,1,1]
	v_pk_fma_f32 v[6:7], v[12:13], v[6:7], v[8:9] op_sel_hi:[0,1,1] neg_lo:[0,0,1] neg_hi:[0,0,1]
	s_and_saveexec_b64 s[16:17], s[18:19]
	s_cbranch_execz .LBB3_28
; %bb.27:                               ;   in Loop: Header=BB3_7 Depth=1
	s_mul_i32 s18, s26, s21
	v_add_u32_e32 v8, s18, v2
	v_ashrrev_i32_e32 v9, 31, v8
	v_mov_b32_e32 v7, v11
	v_lshl_add_u64 v[8:9], v[8:9], 3, s[12:13]
	flat_store_dwordx2 v[8:9], v[6:7]
.LBB3_28:                               ;   in Loop: Header=BB3_7 Depth=1
	s_or_b64 exec, exec, s[16:17]
	s_or_b64 exec, exec, s[6:7]
	s_and_saveexec_b64 s[6:7], s[14:15]
	s_cbranch_execnz .LBB3_17
	s_branch .LBB3_18
.LBB3_29:
	s_mov_b32 s20, 0
.LBB3_30:
	v_cmp_eq_u32_e32 vcc, 0, v2
	s_and_saveexec_b64 s[2:3], vcc
	s_cbranch_execz .LBB3_33
; %bb.31:
	s_load_dwordx2 s[2:3], s[0:1], 0x28
	s_lshl_b64 s[4:5], s[8:9], 2
	v_mov_b32_e32 v0, 0
	s_waitcnt lgkmcnt(0)
	s_add_u32 s2, s2, s4
	s_addc_u32 s3, s3, s5
	global_load_dword v1, v0, s[2:3]
	s_cmp_gt_i32 s20, 0
	s_cselect_b64 s[4:5], -1, 0
	s_waitcnt vmcnt(0)
	v_or_b32_e32 v1, v1, v3
	v_cmp_eq_u32_e32 vcc, 0, v1
	s_and_b64 s[4:5], vcc, s[4:5]
	s_and_b64 exec, exec, s[4:5]
	s_cbranch_execz .LBB3_33
; %bb.32:
	s_load_dword s0, s[0:1], 0x34
	s_waitcnt lgkmcnt(0)
	s_add_i32 s0, s20, s0
	v_mov_b32_e32 v1, s0
	global_store_dword v0, v1, s[2:3]
.LBB3_33:
	s_endpgm
	.section	.rodata,"a",@progbits
	.p2align	6, 0x0
	.amdhsa_kernel _ZN9rocsolver6v33100L23getf2_npvt_panel_kernelI19rocblas_complex_numIfEiiPKPS3_EEvT0_S7_T2_lS7_lPT1_S7_S7_
		.amdhsa_group_segment_fixed_size 0
		.amdhsa_private_segment_fixed_size 0
		.amdhsa_kernarg_size 312
		.amdhsa_user_sgpr_count 2
		.amdhsa_user_sgpr_dispatch_ptr 0
		.amdhsa_user_sgpr_queue_ptr 0
		.amdhsa_user_sgpr_kernarg_segment_ptr 1
		.amdhsa_user_sgpr_dispatch_id 0
		.amdhsa_user_sgpr_kernarg_preload_length 0
		.amdhsa_user_sgpr_kernarg_preload_offset 0
		.amdhsa_user_sgpr_private_segment_size 0
		.amdhsa_uses_dynamic_stack 0
		.amdhsa_enable_private_segment 0
		.amdhsa_system_sgpr_workgroup_id_x 1
		.amdhsa_system_sgpr_workgroup_id_y 0
		.amdhsa_system_sgpr_workgroup_id_z 1
		.amdhsa_system_sgpr_workgroup_info 0
		.amdhsa_system_vgpr_workitem_id 1
		.amdhsa_next_free_vgpr 30
		.amdhsa_next_free_sgpr 28
		.amdhsa_accum_offset 32
		.amdhsa_reserve_vcc 1
		.amdhsa_float_round_mode_32 0
		.amdhsa_float_round_mode_16_64 0
		.amdhsa_float_denorm_mode_32 3
		.amdhsa_float_denorm_mode_16_64 3
		.amdhsa_dx10_clamp 1
		.amdhsa_ieee_mode 1
		.amdhsa_fp16_overflow 0
		.amdhsa_tg_split 0
		.amdhsa_exception_fp_ieee_invalid_op 0
		.amdhsa_exception_fp_denorm_src 0
		.amdhsa_exception_fp_ieee_div_zero 0
		.amdhsa_exception_fp_ieee_overflow 0
		.amdhsa_exception_fp_ieee_underflow 0
		.amdhsa_exception_fp_ieee_inexact 0
		.amdhsa_exception_int_div_zero 0
	.end_amdhsa_kernel
	.section	.text._ZN9rocsolver6v33100L23getf2_npvt_panel_kernelI19rocblas_complex_numIfEiiPKPS3_EEvT0_S7_T2_lS7_lPT1_S7_S7_,"axG",@progbits,_ZN9rocsolver6v33100L23getf2_npvt_panel_kernelI19rocblas_complex_numIfEiiPKPS3_EEvT0_S7_T2_lS7_lPT1_S7_S7_,comdat
.Lfunc_end3:
	.size	_ZN9rocsolver6v33100L23getf2_npvt_panel_kernelI19rocblas_complex_numIfEiiPKPS3_EEvT0_S7_T2_lS7_lPT1_S7_S7_, .Lfunc_end3-_ZN9rocsolver6v33100L23getf2_npvt_panel_kernelI19rocblas_complex_numIfEiiPKPS3_EEvT0_S7_T2_lS7_lPT1_S7_S7_
                                        ; -- End function
	.set _ZN9rocsolver6v33100L23getf2_npvt_panel_kernelI19rocblas_complex_numIfEiiPKPS3_EEvT0_S7_T2_lS7_lPT1_S7_S7_.num_vgpr, 30
	.set _ZN9rocsolver6v33100L23getf2_npvt_panel_kernelI19rocblas_complex_numIfEiiPKPS3_EEvT0_S7_T2_lS7_lPT1_S7_S7_.num_agpr, 0
	.set _ZN9rocsolver6v33100L23getf2_npvt_panel_kernelI19rocblas_complex_numIfEiiPKPS3_EEvT0_S7_T2_lS7_lPT1_S7_S7_.numbered_sgpr, 28
	.set _ZN9rocsolver6v33100L23getf2_npvt_panel_kernelI19rocblas_complex_numIfEiiPKPS3_EEvT0_S7_T2_lS7_lPT1_S7_S7_.num_named_barrier, 0
	.set _ZN9rocsolver6v33100L23getf2_npvt_panel_kernelI19rocblas_complex_numIfEiiPKPS3_EEvT0_S7_T2_lS7_lPT1_S7_S7_.private_seg_size, 0
	.set _ZN9rocsolver6v33100L23getf2_npvt_panel_kernelI19rocblas_complex_numIfEiiPKPS3_EEvT0_S7_T2_lS7_lPT1_S7_S7_.uses_vcc, 1
	.set _ZN9rocsolver6v33100L23getf2_npvt_panel_kernelI19rocblas_complex_numIfEiiPKPS3_EEvT0_S7_T2_lS7_lPT1_S7_S7_.uses_flat_scratch, 0
	.set _ZN9rocsolver6v33100L23getf2_npvt_panel_kernelI19rocblas_complex_numIfEiiPKPS3_EEvT0_S7_T2_lS7_lPT1_S7_S7_.has_dyn_sized_stack, 0
	.set _ZN9rocsolver6v33100L23getf2_npvt_panel_kernelI19rocblas_complex_numIfEiiPKPS3_EEvT0_S7_T2_lS7_lPT1_S7_S7_.has_recursion, 0
	.set _ZN9rocsolver6v33100L23getf2_npvt_panel_kernelI19rocblas_complex_numIfEiiPKPS3_EEvT0_S7_T2_lS7_lPT1_S7_S7_.has_indirect_call, 0
	.section	.AMDGPU.csdata,"",@progbits
; Kernel info:
; codeLenInByte = 1436
; TotalNumSgprs: 34
; NumVgprs: 30
; NumAgprs: 0
; TotalNumVgprs: 30
; ScratchSize: 0
; MemoryBound: 0
; FloatMode: 240
; IeeeMode: 1
; LDSByteSize: 0 bytes/workgroup (compile time only)
; SGPRBlocks: 4
; VGPRBlocks: 3
; NumSGPRsForWavesPerEU: 34
; NumVGPRsForWavesPerEU: 30
; AccumOffset: 32
; Occupancy: 8
; WaveLimiterHint : 1
; COMPUTE_PGM_RSRC2:SCRATCH_EN: 0
; COMPUTE_PGM_RSRC2:USER_SGPR: 2
; COMPUTE_PGM_RSRC2:TRAP_HANDLER: 0
; COMPUTE_PGM_RSRC2:TGID_X_EN: 1
; COMPUTE_PGM_RSRC2:TGID_Y_EN: 0
; COMPUTE_PGM_RSRC2:TGID_Z_EN: 1
; COMPUTE_PGM_RSRC2:TIDIG_COMP_CNT: 1
; COMPUTE_PGM_RSRC3_GFX90A:ACCUM_OFFSET: 7
; COMPUTE_PGM_RSRC3_GFX90A:TG_SPLIT: 0
	.section	.text._ZN9rocsolver6v33100L25getf2_scale_update_kernelI19rocblas_complex_numIfEiPS3_EEvT0_S5_PT_T1_lS5_l,"axG",@progbits,_ZN9rocsolver6v33100L25getf2_scale_update_kernelI19rocblas_complex_numIfEiPS3_EEvT0_S5_PT_T1_lS5_l,comdat
	.globl	_ZN9rocsolver6v33100L25getf2_scale_update_kernelI19rocblas_complex_numIfEiPS3_EEvT0_S5_PT_T1_lS5_l ; -- Begin function _ZN9rocsolver6v33100L25getf2_scale_update_kernelI19rocblas_complex_numIfEiPS3_EEvT0_S5_PT_T1_lS5_l
	.p2align	8
	.type	_ZN9rocsolver6v33100L25getf2_scale_update_kernelI19rocblas_complex_numIfEiPS3_EEvT0_S5_PT_T1_lS5_l,@function
_ZN9rocsolver6v33100L25getf2_scale_update_kernelI19rocblas_complex_numIfEiPS3_EEvT0_S5_PT_T1_lS5_l: ; @_ZN9rocsolver6v33100L25getf2_scale_update_kernelI19rocblas_complex_numIfEiPS3_EEvT0_S5_PT_T1_lS5_l
; %bb.0:
	s_load_dwordx2 s[6:7], s[0:1], 0x18
	s_load_dword s8, s[0:1], 0x20
	s_load_dwordx2 s[10:11], s[0:1], 0x28
	s_load_dword s13, s[0:1], 0x3c
	s_load_dwordx2 s[4:5], s[0:1], 0x0
	s_load_dwordx4 s[16:19], s[0:1], 0x8
	s_mov_b32 s12, s3
	s_waitcnt lgkmcnt(0)
	s_mul_hi_u32 s0, s10, s12
	s_lshr_b32 s3, s13, 16
	s_and_b32 s14, s13, 0xffff
	s_ashr_i32 s13, s12, 31
	s_mul_i32 s1, s10, s13
	s_add_i32 s0, s0, s1
	s_mul_i32 s1, s11, s12
	s_add_i32 s1, s0, s1
	s_mul_i32 s0, s10, s12
	s_ashr_i32 s9, s8, 31
	s_lshl_b64 s[0:1], s[0:1], 3
	s_add_u32 s10, s18, s0
	s_addc_u32 s11, s19, s1
	s_lshl_b64 s[0:1], s[6:7], 3
	s_add_u32 s10, s10, s0
	s_addc_u32 s11, s11, s1
	s_lshl_b64 s[0:1], s[8:9], 3
	s_add_u32 s6, s10, s0
	v_and_b32_e32 v2, 0x3ff, v0
	v_bfe_u32 v6, v0, 10, 10
	s_addc_u32 s7, s11, s1
	s_lshl_b64 s[0:1], s[12:13], 3
	s_add_u32 s12, s16, s0
	v_mad_u32_u24 v0, v2, s3, v6
	s_addc_u32 s13, s17, s1
	v_cmp_gt_i32_e32 vcc, s5, v0
	s_and_saveexec_b64 s[0:1], vcc
	s_cbranch_execz .LBB4_2
; %bb.1:
	v_mul_lo_u32 v4, v0, s8
	v_ashrrev_i32_e32 v5, 31, v4
	v_lshl_add_u64 v[4:5], v[4:5], 3, s[6:7]
	global_load_dwordx2 v[4:5], v[4:5], off
	s_lshl_b32 s9, s14, 3
	s_add_i32 s9, s9, 0
	v_lshl_add_u32 v0, v0, 3, s9
	s_waitcnt vmcnt(0)
	ds_write_b64 v0, v[4:5]
.LBB4_2:
	s_or_b64 exec, exec, s[0:1]
	s_mul_i32 s2, s2, s14
	v_add_u32_e32 v0, s2, v2
	v_cmp_eq_u32_e64 s[0:1], 0, v6
	v_cmp_gt_i32_e32 vcc, s4, v0
	s_and_b64 s[16:17], s[0:1], vcc
	v_lshl_add_u32 v3, v2, 3, 0
	s_and_saveexec_b64 s[0:1], s[16:17]
	s_cbranch_execz .LBB4_4
; %bb.3:
	v_ashrrev_i32_e32 v1, 31, v0
	v_lshl_add_u64 v[0:1], v[0:1], 3, s[10:11]
	global_load_dwordx2 v[4:5], v[0:1], off offset:8
	s_load_dwordx2 s[10:11], s[12:13], 0x0
	s_waitcnt vmcnt(0) lgkmcnt(0)
	v_pk_mul_f32 v[8:9], s[10:11], v[4:5] op_sel:[1,1] op_sel_hi:[0,1]
	v_pk_fma_f32 v[10:11], s[10:11], v[4:5], v[8:9] neg_lo:[0,0,1] neg_hi:[0,0,1]
	v_pk_fma_f32 v[4:5], s[10:11], v[4:5], v[8:9] op_sel_hi:[1,0,1]
	s_nop 0
	v_mov_b32_e32 v11, v5
	ds_write_b64 v3, v[10:11]
	global_store_dwordx2 v[0:1], v[10:11], off offset:8
.LBB4_4:
	s_or_b64 exec, exec, s[0:1]
	v_cmp_gt_i32_e64 s[0:1], s5, v6
	s_and_b64 s[0:1], vcc, s[0:1]
	s_waitcnt lgkmcnt(0)
	s_barrier
	s_and_saveexec_b64 s[10:11], s[0:1]
	s_cbranch_execz .LBB4_7
; %bb.5:
	ds_read_b64 v[0:1], v3
	s_lshl_b32 s0, s14, 3
	v_mul_lo_u32 v3, v6, s8
	s_add_i32 s0, s0, 0
	v_add3_u32 v2, v2, v3, s2
	s_waitcnt lgkmcnt(0)
	v_mov_b32_e32 v4, v0
	v_mov_b32_e32 v5, v0
	;; [unrolled: 1-line block ×3, first 2 shown]
	s_mul_i32 s2, s8, s3
	v_lshl_add_u32 v7, v6, 3, s0
	s_lshl_b32 s4, s3, 3
	s_mov_b64 s[0:1], 0
.LBB4_6:                                ; =>This Inner Loop Header: Depth=1
	v_ashrrev_i32_e32 v3, 31, v2
	v_lshl_add_u64 v[8:9], v[2:3], 3, s[6:7]
	global_load_dwordx2 v[10:11], v[8:9], off offset:8
	ds_read_b64 v[12:13], v7
	v_add_u32_e32 v6, s3, v6
	v_cmp_le_i32_e32 vcc, s5, v6
	v_add_u32_e32 v7, s4, v7
	v_add_u32_e32 v2, s2, v2
	s_waitcnt lgkmcnt(0)
	v_pk_mul_f32 v[14:15], v[12:13], v[0:1] op_sel:[1,0] op_sel_hi:[0,1]
	v_pk_fma_f32 v[16:17], v[12:13], v[4:5], v[14:15] neg_lo:[0,0,1] neg_hi:[0,0,1]
	v_pk_fma_f32 v[12:13], v[12:13], v[4:5], v[14:15]
	s_or_b64 s[0:1], vcc, s[0:1]
	v_mov_b32_e32 v17, v13
	s_waitcnt vmcnt(0)
	v_pk_add_f32 v[10:11], v[10:11], v[16:17] neg_lo:[0,1] neg_hi:[0,1]
	global_store_dwordx2 v[8:9], v[10:11], off offset:8
	s_andn2_b64 exec, exec, s[0:1]
	s_cbranch_execnz .LBB4_6
.LBB4_7:
	s_endpgm
	.section	.rodata,"a",@progbits
	.p2align	6, 0x0
	.amdhsa_kernel _ZN9rocsolver6v33100L25getf2_scale_update_kernelI19rocblas_complex_numIfEiPS3_EEvT0_S5_PT_T1_lS5_l
		.amdhsa_group_segment_fixed_size 0
		.amdhsa_private_segment_fixed_size 0
		.amdhsa_kernarg_size 304
		.amdhsa_user_sgpr_count 2
		.amdhsa_user_sgpr_dispatch_ptr 0
		.amdhsa_user_sgpr_queue_ptr 0
		.amdhsa_user_sgpr_kernarg_segment_ptr 1
		.amdhsa_user_sgpr_dispatch_id 0
		.amdhsa_user_sgpr_kernarg_preload_length 0
		.amdhsa_user_sgpr_kernarg_preload_offset 0
		.amdhsa_user_sgpr_private_segment_size 0
		.amdhsa_uses_dynamic_stack 0
		.amdhsa_enable_private_segment 0
		.amdhsa_system_sgpr_workgroup_id_x 1
		.amdhsa_system_sgpr_workgroup_id_y 0
		.amdhsa_system_sgpr_workgroup_id_z 1
		.amdhsa_system_sgpr_workgroup_info 0
		.amdhsa_system_vgpr_workitem_id 1
		.amdhsa_next_free_vgpr 18
		.amdhsa_next_free_sgpr 20
		.amdhsa_accum_offset 20
		.amdhsa_reserve_vcc 1
		.amdhsa_float_round_mode_32 0
		.amdhsa_float_round_mode_16_64 0
		.amdhsa_float_denorm_mode_32 3
		.amdhsa_float_denorm_mode_16_64 3
		.amdhsa_dx10_clamp 1
		.amdhsa_ieee_mode 1
		.amdhsa_fp16_overflow 0
		.amdhsa_tg_split 0
		.amdhsa_exception_fp_ieee_invalid_op 0
		.amdhsa_exception_fp_denorm_src 0
		.amdhsa_exception_fp_ieee_div_zero 0
		.amdhsa_exception_fp_ieee_overflow 0
		.amdhsa_exception_fp_ieee_underflow 0
		.amdhsa_exception_fp_ieee_inexact 0
		.amdhsa_exception_int_div_zero 0
	.end_amdhsa_kernel
	.section	.text._ZN9rocsolver6v33100L25getf2_scale_update_kernelI19rocblas_complex_numIfEiPS3_EEvT0_S5_PT_T1_lS5_l,"axG",@progbits,_ZN9rocsolver6v33100L25getf2_scale_update_kernelI19rocblas_complex_numIfEiPS3_EEvT0_S5_PT_T1_lS5_l,comdat
.Lfunc_end4:
	.size	_ZN9rocsolver6v33100L25getf2_scale_update_kernelI19rocblas_complex_numIfEiPS3_EEvT0_S5_PT_T1_lS5_l, .Lfunc_end4-_ZN9rocsolver6v33100L25getf2_scale_update_kernelI19rocblas_complex_numIfEiPS3_EEvT0_S5_PT_T1_lS5_l
                                        ; -- End function
	.set _ZN9rocsolver6v33100L25getf2_scale_update_kernelI19rocblas_complex_numIfEiPS3_EEvT0_S5_PT_T1_lS5_l.num_vgpr, 18
	.set _ZN9rocsolver6v33100L25getf2_scale_update_kernelI19rocblas_complex_numIfEiPS3_EEvT0_S5_PT_T1_lS5_l.num_agpr, 0
	.set _ZN9rocsolver6v33100L25getf2_scale_update_kernelI19rocblas_complex_numIfEiPS3_EEvT0_S5_PT_T1_lS5_l.numbered_sgpr, 20
	.set _ZN9rocsolver6v33100L25getf2_scale_update_kernelI19rocblas_complex_numIfEiPS3_EEvT0_S5_PT_T1_lS5_l.num_named_barrier, 0
	.set _ZN9rocsolver6v33100L25getf2_scale_update_kernelI19rocblas_complex_numIfEiPS3_EEvT0_S5_PT_T1_lS5_l.private_seg_size, 0
	.set _ZN9rocsolver6v33100L25getf2_scale_update_kernelI19rocblas_complex_numIfEiPS3_EEvT0_S5_PT_T1_lS5_l.uses_vcc, 1
	.set _ZN9rocsolver6v33100L25getf2_scale_update_kernelI19rocblas_complex_numIfEiPS3_EEvT0_S5_PT_T1_lS5_l.uses_flat_scratch, 0
	.set _ZN9rocsolver6v33100L25getf2_scale_update_kernelI19rocblas_complex_numIfEiPS3_EEvT0_S5_PT_T1_lS5_l.has_dyn_sized_stack, 0
	.set _ZN9rocsolver6v33100L25getf2_scale_update_kernelI19rocblas_complex_numIfEiPS3_EEvT0_S5_PT_T1_lS5_l.has_recursion, 0
	.set _ZN9rocsolver6v33100L25getf2_scale_update_kernelI19rocblas_complex_numIfEiPS3_EEvT0_S5_PT_T1_lS5_l.has_indirect_call, 0
	.section	.AMDGPU.csdata,"",@progbits
; Kernel info:
; codeLenInByte = 576
; TotalNumSgprs: 26
; NumVgprs: 18
; NumAgprs: 0
; TotalNumVgprs: 18
; ScratchSize: 0
; MemoryBound: 0
; FloatMode: 240
; IeeeMode: 1
; LDSByteSize: 0 bytes/workgroup (compile time only)
; SGPRBlocks: 3
; VGPRBlocks: 2
; NumSGPRsForWavesPerEU: 26
; NumVGPRsForWavesPerEU: 18
; AccumOffset: 20
; Occupancy: 8
; WaveLimiterHint : 0
; COMPUTE_PGM_RSRC2:SCRATCH_EN: 0
; COMPUTE_PGM_RSRC2:USER_SGPR: 2
; COMPUTE_PGM_RSRC2:TRAP_HANDLER: 0
; COMPUTE_PGM_RSRC2:TGID_X_EN: 1
; COMPUTE_PGM_RSRC2:TGID_Y_EN: 0
; COMPUTE_PGM_RSRC2:TGID_Z_EN: 1
; COMPUTE_PGM_RSRC2:TIDIG_COMP_CNT: 1
; COMPUTE_PGM_RSRC3_GFX90A:ACCUM_OFFSET: 4
; COMPUTE_PGM_RSRC3_GFX90A:TG_SPLIT: 0
	.section	.text._ZN9rocsolver6v33100L25getf2_scale_update_kernelI19rocblas_complex_numIfEiPKPS3_EEvT0_S7_PT_T1_lS7_l,"axG",@progbits,_ZN9rocsolver6v33100L25getf2_scale_update_kernelI19rocblas_complex_numIfEiPKPS3_EEvT0_S7_PT_T1_lS7_l,comdat
	.globl	_ZN9rocsolver6v33100L25getf2_scale_update_kernelI19rocblas_complex_numIfEiPKPS3_EEvT0_S7_PT_T1_lS7_l ; -- Begin function _ZN9rocsolver6v33100L25getf2_scale_update_kernelI19rocblas_complex_numIfEiPKPS3_EEvT0_S7_PT_T1_lS7_l
	.p2align	8
	.type	_ZN9rocsolver6v33100L25getf2_scale_update_kernelI19rocblas_complex_numIfEiPKPS3_EEvT0_S7_PT_T1_lS7_l,@function
_ZN9rocsolver6v33100L25getf2_scale_update_kernelI19rocblas_complex_numIfEiPKPS3_EEvT0_S7_PT_T1_lS7_l: ; @_ZN9rocsolver6v33100L25getf2_scale_update_kernelI19rocblas_complex_numIfEiPKPS3_EEvT0_S7_PT_T1_lS7_l
; %bb.0:
	s_load_dword s8, s[0:1], 0x20
	s_load_dword s5, s[0:1], 0x3c
	s_load_dwordx2 s[6:7], s[0:1], 0x18
	s_load_dwordx4 s[16:19], s[0:1], 0x8
	s_mov_b32 s4, s3
	s_waitcnt lgkmcnt(0)
	s_ashr_i32 s9, s8, 31
	s_lshr_b32 s3, s5, 16
	s_and_b32 s14, s5, 0xffff
	s_ashr_i32 s5, s4, 31
	s_lshl_b64 s[12:13], s[4:5], 3
	s_add_u32 s10, s18, s12
	s_addc_u32 s11, s19, s13
	s_load_dwordx2 s[18:19], s[10:11], 0x0
	s_load_dwordx2 s[4:5], s[0:1], 0x0
	s_lshl_b64 s[0:1], s[6:7], 3
	v_and_b32_e32 v4, 0x3ff, v0
	v_bfe_u32 v2, v0, 10, 10
	s_waitcnt lgkmcnt(0)
	s_add_u32 s10, s18, s0
	s_addc_u32 s11, s19, s1
	s_lshl_b64 s[0:1], s[8:9], 3
	s_add_u32 s6, s10, s0
	s_addc_u32 s7, s11, s1
	s_add_u32 s12, s16, s12
	v_mad_u32_u24 v0, v4, s3, v2
	s_addc_u32 s13, s17, s13
	v_cmp_gt_i32_e32 vcc, s5, v0
	s_and_saveexec_b64 s[0:1], vcc
	s_cbranch_execz .LBB5_2
; %bb.1:
	v_mul_lo_u32 v6, v0, s8
	v_ashrrev_i32_e32 v7, 31, v6
	v_lshl_add_u64 v[6:7], v[6:7], 3, s[6:7]
	flat_load_dwordx2 v[6:7], v[6:7]
	s_lshl_b32 s9, s14, 3
	s_add_i32 s9, s9, 0
	v_lshl_add_u32 v0, v0, 3, s9
	s_waitcnt vmcnt(0) lgkmcnt(0)
	ds_write_b64 v0, v[6:7]
.LBB5_2:
	s_or_b64 exec, exec, s[0:1]
	s_mul_i32 s2, s2, s14
	v_add_u32_e32 v0, s2, v4
	v_cmp_eq_u32_e64 s[0:1], 0, v2
	v_cmp_gt_i32_e32 vcc, s4, v0
	s_and_b64 s[16:17], s[0:1], vcc
	v_lshl_add_u32 v3, v4, 3, 0
	s_and_saveexec_b64 s[0:1], s[16:17]
	s_cbranch_execz .LBB5_4
; %bb.3:
	v_ashrrev_i32_e32 v1, 31, v0
	v_lshl_add_u64 v[0:1], v[0:1], 3, s[10:11]
	flat_load_dwordx2 v[6:7], v[0:1] offset:8
	s_load_dwordx2 s[10:11], s[12:13], 0x0
	s_waitcnt vmcnt(0) lgkmcnt(0)
	v_pk_mul_f32 v[8:9], s[10:11], v[6:7] op_sel:[1,1] op_sel_hi:[0,1]
	v_pk_fma_f32 v[10:11], s[10:11], v[6:7], v[8:9] neg_lo:[0,0,1] neg_hi:[0,0,1]
	v_pk_fma_f32 v[6:7], s[10:11], v[6:7], v[8:9] op_sel_hi:[1,0,1]
	s_nop 0
	v_mov_b32_e32 v11, v7
	ds_write_b64 v3, v[10:11]
	flat_store_dwordx2 v[0:1], v[10:11] offset:8
.LBB5_4:
	s_or_b64 exec, exec, s[0:1]
	v_cmp_gt_i32_e64 s[0:1], s5, v2
	s_and_b64 s[0:1], vcc, s[0:1]
	s_waitcnt lgkmcnt(0)
	s_barrier
	s_and_saveexec_b64 s[10:11], s[0:1]
	s_cbranch_execz .LBB5_7
; %bb.5:
	s_lshl_b32 s0, s14, 3
	v_mul_lo_u32 v0, v2, s8
	s_add_i32 s0, s0, 0
	v_add3_u32 v0, v4, v0, s2
	s_mul_i32 s2, s8, s3
	v_lshl_add_u32 v4, v2, 3, s0
	s_lshl_b32 s4, s3, 3
	s_mov_b64 s[0:1], 0
.LBB5_6:                                ; =>This Inner Loop Header: Depth=1
	v_ashrrev_i32_e32 v1, 31, v0
	v_lshl_add_u64 v[6:7], v[0:1], 3, s[6:7]
	flat_load_dwordx2 v[8:9], v[6:7] offset:8
	ds_read_b64 v[10:11], v3
	ds_read_b64 v[12:13], v4
	v_add_u32_e32 v2, s3, v2
	v_cmp_le_i32_e32 vcc, s5, v2
	v_add_u32_e32 v4, s4, v4
	v_add_u32_e32 v0, s2, v0
	s_waitcnt lgkmcnt(0)
	v_pk_mul_f32 v[14:15], v[12:13], v[10:11] op_sel:[1,1] op_sel_hi:[0,1]
	v_pk_fma_f32 v[16:17], v[12:13], v[10:11], v[14:15] neg_lo:[0,0,1] neg_hi:[0,0,1]
	v_pk_fma_f32 v[10:11], v[12:13], v[10:11], v[14:15] op_sel_hi:[1,0,1]
	s_or_b64 s[0:1], vcc, s[0:1]
	v_mov_b32_e32 v17, v11
	s_waitcnt vmcnt(0)
	v_pk_add_f32 v[8:9], v[8:9], v[16:17] neg_lo:[0,1] neg_hi:[0,1]
	flat_store_dwordx2 v[6:7], v[8:9] offset:8
	s_andn2_b64 exec, exec, s[0:1]
	s_cbranch_execnz .LBB5_6
.LBB5_7:
	s_endpgm
	.section	.rodata,"a",@progbits
	.p2align	6, 0x0
	.amdhsa_kernel _ZN9rocsolver6v33100L25getf2_scale_update_kernelI19rocblas_complex_numIfEiPKPS3_EEvT0_S7_PT_T1_lS7_l
		.amdhsa_group_segment_fixed_size 0
		.amdhsa_private_segment_fixed_size 0
		.amdhsa_kernarg_size 304
		.amdhsa_user_sgpr_count 2
		.amdhsa_user_sgpr_dispatch_ptr 0
		.amdhsa_user_sgpr_queue_ptr 0
		.amdhsa_user_sgpr_kernarg_segment_ptr 1
		.amdhsa_user_sgpr_dispatch_id 0
		.amdhsa_user_sgpr_kernarg_preload_length 0
		.amdhsa_user_sgpr_kernarg_preload_offset 0
		.amdhsa_user_sgpr_private_segment_size 0
		.amdhsa_uses_dynamic_stack 0
		.amdhsa_enable_private_segment 0
		.amdhsa_system_sgpr_workgroup_id_x 1
		.amdhsa_system_sgpr_workgroup_id_y 0
		.amdhsa_system_sgpr_workgroup_id_z 1
		.amdhsa_system_sgpr_workgroup_info 0
		.amdhsa_system_vgpr_workitem_id 1
		.amdhsa_next_free_vgpr 18
		.amdhsa_next_free_sgpr 20
		.amdhsa_accum_offset 20
		.amdhsa_reserve_vcc 1
		.amdhsa_float_round_mode_32 0
		.amdhsa_float_round_mode_16_64 0
		.amdhsa_float_denorm_mode_32 3
		.amdhsa_float_denorm_mode_16_64 3
		.amdhsa_dx10_clamp 1
		.amdhsa_ieee_mode 1
		.amdhsa_fp16_overflow 0
		.amdhsa_tg_split 0
		.amdhsa_exception_fp_ieee_invalid_op 0
		.amdhsa_exception_fp_denorm_src 0
		.amdhsa_exception_fp_ieee_div_zero 0
		.amdhsa_exception_fp_ieee_overflow 0
		.amdhsa_exception_fp_ieee_underflow 0
		.amdhsa_exception_fp_ieee_inexact 0
		.amdhsa_exception_int_div_zero 0
	.end_amdhsa_kernel
	.section	.text._ZN9rocsolver6v33100L25getf2_scale_update_kernelI19rocblas_complex_numIfEiPKPS3_EEvT0_S7_PT_T1_lS7_l,"axG",@progbits,_ZN9rocsolver6v33100L25getf2_scale_update_kernelI19rocblas_complex_numIfEiPKPS3_EEvT0_S7_PT_T1_lS7_l,comdat
.Lfunc_end5:
	.size	_ZN9rocsolver6v33100L25getf2_scale_update_kernelI19rocblas_complex_numIfEiPKPS3_EEvT0_S7_PT_T1_lS7_l, .Lfunc_end5-_ZN9rocsolver6v33100L25getf2_scale_update_kernelI19rocblas_complex_numIfEiPKPS3_EEvT0_S7_PT_T1_lS7_l
                                        ; -- End function
	.set _ZN9rocsolver6v33100L25getf2_scale_update_kernelI19rocblas_complex_numIfEiPKPS3_EEvT0_S7_PT_T1_lS7_l.num_vgpr, 18
	.set _ZN9rocsolver6v33100L25getf2_scale_update_kernelI19rocblas_complex_numIfEiPKPS3_EEvT0_S7_PT_T1_lS7_l.num_agpr, 0
	.set _ZN9rocsolver6v33100L25getf2_scale_update_kernelI19rocblas_complex_numIfEiPKPS3_EEvT0_S7_PT_T1_lS7_l.numbered_sgpr, 20
	.set _ZN9rocsolver6v33100L25getf2_scale_update_kernelI19rocblas_complex_numIfEiPKPS3_EEvT0_S7_PT_T1_lS7_l.num_named_barrier, 0
	.set _ZN9rocsolver6v33100L25getf2_scale_update_kernelI19rocblas_complex_numIfEiPKPS3_EEvT0_S7_PT_T1_lS7_l.private_seg_size, 0
	.set _ZN9rocsolver6v33100L25getf2_scale_update_kernelI19rocblas_complex_numIfEiPKPS3_EEvT0_S7_PT_T1_lS7_l.uses_vcc, 1
	.set _ZN9rocsolver6v33100L25getf2_scale_update_kernelI19rocblas_complex_numIfEiPKPS3_EEvT0_S7_PT_T1_lS7_l.uses_flat_scratch, 0
	.set _ZN9rocsolver6v33100L25getf2_scale_update_kernelI19rocblas_complex_numIfEiPKPS3_EEvT0_S7_PT_T1_lS7_l.has_dyn_sized_stack, 0
	.set _ZN9rocsolver6v33100L25getf2_scale_update_kernelI19rocblas_complex_numIfEiPKPS3_EEvT0_S7_PT_T1_lS7_l.has_recursion, 0
	.set _ZN9rocsolver6v33100L25getf2_scale_update_kernelI19rocblas_complex_numIfEiPKPS3_EEvT0_S7_PT_T1_lS7_l.has_indirect_call, 0
	.section	.AMDGPU.csdata,"",@progbits
; Kernel info:
; codeLenInByte = 536
; TotalNumSgprs: 26
; NumVgprs: 18
; NumAgprs: 0
; TotalNumVgprs: 18
; ScratchSize: 0
; MemoryBound: 0
; FloatMode: 240
; IeeeMode: 1
; LDSByteSize: 0 bytes/workgroup (compile time only)
; SGPRBlocks: 3
; VGPRBlocks: 2
; NumSGPRsForWavesPerEU: 26
; NumVGPRsForWavesPerEU: 18
; AccumOffset: 20
; Occupancy: 8
; WaveLimiterHint : 1
; COMPUTE_PGM_RSRC2:SCRATCH_EN: 0
; COMPUTE_PGM_RSRC2:USER_SGPR: 2
; COMPUTE_PGM_RSRC2:TRAP_HANDLER: 0
; COMPUTE_PGM_RSRC2:TGID_X_EN: 1
; COMPUTE_PGM_RSRC2:TGID_Y_EN: 0
; COMPUTE_PGM_RSRC2:TGID_Z_EN: 1
; COMPUTE_PGM_RSRC2:TIDIG_COMP_CNT: 1
; COMPUTE_PGM_RSRC3_GFX90A:ACCUM_OFFSET: 4
; COMPUTE_PGM_RSRC3_GFX90A:TG_SPLIT: 0
	.section	.text._ZN9rocsolver6v33100L18getf2_panel_kernelI19rocblas_complex_numIfEllPS3_EEvT0_S5_T2_lS5_lPS5_llPT1_S5_S5_S7_l,"axG",@progbits,_ZN9rocsolver6v33100L18getf2_panel_kernelI19rocblas_complex_numIfEllPS3_EEvT0_S5_T2_lS5_lPS5_llPT1_S5_S5_S7_l,comdat
	.globl	_ZN9rocsolver6v33100L18getf2_panel_kernelI19rocblas_complex_numIfEllPS3_EEvT0_S5_T2_lS5_lPS5_llPT1_S5_S5_S7_l ; -- Begin function _ZN9rocsolver6v33100L18getf2_panel_kernelI19rocblas_complex_numIfEllPS3_EEvT0_S5_T2_lS5_lPS5_llPT1_S5_S5_S7_l
	.p2align	8
	.type	_ZN9rocsolver6v33100L18getf2_panel_kernelI19rocblas_complex_numIfEllPS3_EEvT0_S5_T2_lS5_lPS5_llPT1_S5_S5_S7_l,@function
_ZN9rocsolver6v33100L18getf2_panel_kernelI19rocblas_complex_numIfEllPS3_EEvT0_S5_T2_lS5_lPS5_llPT1_S5_S5_S7_l: ; @_ZN9rocsolver6v33100L18getf2_panel_kernelI19rocblas_complex_numIfEllPS3_EEvT0_S5_T2_lS5_lPS5_llPT1_S5_S5_S7_l
; %bb.0:
	s_mov_b32 s34, s3
	s_load_dwordx4 s[28:31], s[0:1], 0x58
	s_load_dwordx2 s[2:3], s[0:1], 0x68
	s_load_dword s47, s[0:1], 0x7c
	s_mov_b32 s35, 0
	s_mov_b64 s[42:43], 0
	s_waitcnt lgkmcnt(0)
	s_cmp_eq_u64 s[30:31], 0
	s_cselect_b64 s[40:41], -1, 0
	s_and_b64 vcc, exec, s[40:41]
	s_cbranch_vccnz .LBB6_2
; %bb.1:
	s_mul_i32 s3, s3, s34
	s_mul_hi_u32 s4, s2, s34
	s_add_i32 s3, s4, s3
	s_mul_i32 s2, s2, s34
	s_lshl_b64 s[2:3], s[2:3], 3
	s_add_u32 s42, s30, s2
	s_addc_u32 s43, s31, s3
.LBB6_2:
	s_load_dwordx16 s[12:27], s[0:1], 0x0
	s_and_b32 s30, s47, 0xffff
	v_bfe_u32 v12, v0, 10, 10
	v_and_b32_e32 v2, 0x3ff, v0
	v_mov_b32_e32 v3, 0
	s_waitcnt lgkmcnt(0)
	s_mul_i32 s2, s23, s34
	s_mul_hi_u32 s3, s22, s34
	s_add_i32 s3, s3, s2
	s_mul_i32 s2, s22, s34
	s_lshl_b64 s[8:9], s[2:3], 3
	s_add_u32 s2, s16, s8
	s_addc_u32 s3, s17, s9
	s_lshl_b64 s[44:45], s[18:19], 3
	s_add_u32 s6, s2, s44
	s_addc_u32 s7, s3, s45
	s_lshl_b32 s2, s30, 3
	s_add_i32 s33, s2, 8
	s_lshl_b32 s2, s14, 3
	s_add_i32 s52, s33, s2
	;; [unrolled: 2-line block ×3, first 2 shown]
	v_cmp_eq_u32_e64 s[10:11], 0, v12
                                        ; implicit-def: $vgpr24
	s_and_saveexec_b64 s[2:3], s[10:11]
	s_cbranch_execz .LBB6_6
; %bb.3:
	v_cmp_gt_i64_e32 vcc, s[12:13], v[2:3]
	v_mov_b32_e32 v0, v3
	v_mov_b32_e32 v1, v3
	s_and_saveexec_b64 s[4:5], vcc
	s_cbranch_execz .LBB6_5
; %bb.4:
	v_lshlrev_b32_e32 v0, 3, v2
	global_load_dwordx2 v[0:1], v0, s[6:7]
.LBB6_5:
	s_or_b64 exec, exec, s[4:5]
	v_lshlrev_b32_e32 v4, 3, v2
	v_add_u32_e32 v5, 8, v4
	s_waitcnt vmcnt(0)
	v_cmp_gt_f32_e32 vcc, 0, v1
	ds_write_b64 v5, v[0:1]
	s_nop 0
	v_cndmask_b32_e64 v1, v1, -v1, vcc
	v_cmp_gt_f32_e32 vcc, 0, v0
	s_nop 1
	v_cndmask_b32_e64 v0, v0, -v0, vcc
	v_add_f32_e32 v24, v0, v1
	v_lshl_add_u32 v0, v2, 2, s52
	ds_write_b32 v0, v24
	v_add_u32_e32 v0, s46, v4
	ds_write_b64 v0, v[2:3]
.LBB6_6:
	s_or_b64 exec, exec, s[2:3]
	s_load_dwordx4 s[36:39], s[0:1], 0x40
	v_cmp_lt_i64_e64 s[0:1], s[14:15], 1
	s_and_b64 vcc, exec, s[0:1]
	s_cbranch_vccnz .LBB6_56
; %bb.7:
	s_waitcnt lgkmcnt(0)
	s_mul_i32 s0, s37, s34
	s_mul_hi_u32 s1, s36, s34
	s_add_i32 s1, s1, s0
	s_mul_i32 s0, s36, s34
	s_lshr_b32 s18, s47, 16
	s_lshl_b64 s[0:1], s[0:1], 3
	s_add_u32 s2, s24, s0
	s_addc_u32 s3, s25, s1
	s_lshl_b64 s[0:1], s[26:27], 3
	s_add_u32 s53, s2, s0
	s_addc_u32 s54, s3, s1
	s_lshr_b32 s22, s30, 1
	v_or_b32_e32 v0, v2, v12
	v_mad_u64_u32 v[6:7], s[0:1], s20, v2, 0
	v_mov_b32_e32 v1, 0
	s_cmp_gt_u32 s30, 1
	v_cmp_eq_u32_e64 s[2:3], 0, v0
	v_mov_b32_e32 v0, v7
	s_cselect_b64 s[24:25], -1, 0
	s_add_u32 s55, s28, 1
	v_cmp_gt_u64_e32 vcc, s[14:15], v[2:3]
	v_mad_u64_u32 v[8:9], s[0:1], s21, v2, v[0:1]
	v_add_u32_e32 v0, 2, v12
	s_addc_u32 s56, s29, 0
	s_and_b64 s[26:27], s[10:11], vcc
	v_mad_u64_u32 v[14:15], s[0:1], s20, v0, 0
	s_add_u32 s30, s14, -1
	v_mov_b32_e32 v16, v15
	s_addc_u32 s31, s15, -1
	v_mad_u64_u32 v[16:17], s[0:1], s21, v0, v[16:17]
	s_add_u32 s0, s44, s8
	v_mov_b32_e32 v15, v16
	s_addc_u32 s1, s45, s9
	v_lshlrev_b32_e32 v10, 3, v2
	v_mov_b32_e32 v11, v1
	v_lshl_add_u64 v[14:15], v[14:15], 3, s[0:1]
	s_mul_i32 s0, s21, s18
	s_mul_hi_u32 s1, s20, s18
	s_mov_b32 s19, 0
	v_lshl_add_u64 v[4:5], s[6:7], 0, v[10:11]
	v_add_u32_e32 v26, s46, v10
	v_add_u32_e32 v27, 8, v10
	v_mov_b32_e32 v7, v8
	v_add_u32_e32 v28, s33, v10
	v_lshl_add_u64 v[8:9], s[42:43], 0, v[10:11]
	v_lshl_add_u64 v[10:11], v[14:15], 0, v[10:11]
	s_add_i32 s1, s1, s0
	s_mul_i32 s0, s20, s18
	v_lshlrev_b32_e32 v12, 3, v12
	s_mov_b32 s23, s19
	v_lshl_add_u32 v25, v2, 2, s52
	v_cmp_gt_i64_e64 s[4:5], s[12:13], v[2:3]
	v_lshl_add_u64 v[6:7], v[6:7], 3, s[6:7]
	v_cmp_le_i64_e64 s[6:7], s[12:13], v[2:3]
	v_lshl_add_u64 v[10:11], s[16:17], 0, v[10:11]
	s_lshl_b64 s[16:17], s[20:21], 3
	s_lshl_b64 s[36:37], s[0:1], 3
	v_add3_u32 v29, s33, v12, 16
	s_lshl_b32 s57, s18, 3
	s_mov_b64 s[12:13], 0
	v_mov_b32_e32 v30, s46
	v_mov_b32_e32 v32, v1
	;; [unrolled: 1-line block ×3, first 2 shown]
	s_mov_b64 s[44:45], 0
	s_branch .LBB6_9
.LBB6_8:                                ;   in Loop: Header=BB6_9 Depth=1
	s_or_b64 exec, exec, s[0:1]
	s_add_u32 s44, s44, 1
	s_addc_u32 s45, s45, 0
	v_lshl_add_u64 v[10:11], v[10:11], 0, s[16:17]
	s_cmp_eq_u64 s[44:45], s[14:15]
	v_add_u32_e32 v29, 8, v29
	s_cbranch_scc1 .LBB6_57
.LBB6_9:                                ; =>This Loop Header: Depth=1
                                        ;     Child Loop BB6_16 Depth 2
                                        ;     Child Loop BB6_50 Depth 2
	s_andn2_b64 vcc, exec, s[24:25]
	s_mov_b64 s[8:9], s[22:23]
	v_mov_b64_e32 v[12:13], v[2:3]
	s_barrier
	s_cbranch_vccnz .LBB6_18
; %bb.10:                               ;   in Loop: Header=BB6_9 Depth=1
	v_cmp_gt_u64_e32 vcc, s[8:9], v[2:3]
	s_and_b64 s[0:1], s[10:11], vcc
	s_and_saveexec_b64 s[46:47], s[0:1]
	s_cbranch_execz .LBB6_16
.LBB6_11:                               ;   in Loop: Header=BB6_9 Depth=1
	v_lshl_add_u32 v14, s8, 2, v25
	ds_read_b32 v16, v14
	v_lshl_add_u32 v14, s8, 3, v26
	ds_read_b64 v[14:15], v14
	s_waitcnt lgkmcnt(1)
	v_cmp_lt_f32_e64 s[48:49], v24, v16
	v_cmp_nlt_f32_e32 vcc, v24, v16
	s_and_saveexec_b64 s[50:51], vcc
	s_cbranch_execz .LBB6_13
; %bb.12:                               ;   in Loop: Header=BB6_9 Depth=1
	v_cmp_eq_f32_e32 vcc, v24, v16
	s_waitcnt lgkmcnt(0)
	v_cmp_gt_i64_e64 s[0:1], v[12:13], v[14:15]
	s_and_b64 s[0:1], vcc, s[0:1]
	s_andn2_b64 s[48:49], s[48:49], exec
	s_and_b64 s[0:1], s[0:1], exec
	s_or_b64 s[48:49], s[48:49], s[0:1]
.LBB6_13:                               ;   in Loop: Header=BB6_9 Depth=1
	s_or_b64 exec, exec, s[50:51]
	s_and_saveexec_b64 s[0:1], s[48:49]
	s_cbranch_execz .LBB6_15
; %bb.14:                               ;   in Loop: Header=BB6_9 Depth=1
	v_mov_b32_e32 v24, v16
	s_waitcnt lgkmcnt(0)
	v_mov_b64_e32 v[12:13], v[14:15]
	ds_write_b32 v25, v16
	ds_write_b64 v26, v[14:15]
.LBB6_15:                               ;   in Loop: Header=BB6_9 Depth=1
	s_or_b64 exec, exec, s[0:1]
.LBB6_16:                               ;   Parent Loop BB6_9 Depth=1
                                        ; =>  This Inner Loop Header: Depth=2
	s_or_b64 exec, exec, s[46:47]
	s_lshr_b64 s[0:1], s[8:9], 1
	v_cmp_lt_u64_e64 s[8:9], s[8:9], 2
	s_and_b64 vcc, exec, s[8:9]
	s_waitcnt lgkmcnt(0)
	s_barrier
	s_cbranch_vccnz .LBB6_18
; %bb.17:                               ;   in Loop: Header=BB6_16 Depth=2
	s_mov_b64 s[8:9], s[0:1]
	v_cmp_gt_u64_e32 vcc, s[8:9], v[2:3]
	s_and_b64 s[0:1], s[10:11], vcc
	s_and_saveexec_b64 s[46:47], s[0:1]
	s_cbranch_execnz .LBB6_11
	s_branch .LBB6_16
.LBB6_18:                               ;   in Loop: Header=BB6_9 Depth=1
	ds_read_b64 v[14:15], v30
	s_waitcnt lgkmcnt(0)
	v_lshlrev_b32_e32 v12, 3, v14
	v_add_u32_e32 v12, 8, v12
	ds_read_b64 v[12:13], v12
	v_readfirstlane_b32 s46, v14
	v_readfirstlane_b32 s47, v15
	s_waitcnt lgkmcnt(0)
	v_cmp_eq_f32_e32 vcc, 0, v12
	v_cmp_eq_f32_e64 s[0:1], 0, v13
	s_and_b64 s[0:1], vcc, s[0:1]
	s_andn2_b64 vcc, exec, s[0:1]
	s_cbranch_vccz .LBB6_21
; %bb.19:                               ;   in Loop: Header=BB6_9 Depth=1
	v_cmp_ngt_f32_e64 s[0:1], |v12|, |v13|
	s_and_b64 vcc, exec, s[0:1]
	s_cbranch_vccz .LBB6_23
; %bb.20:                               ;   in Loop: Header=BB6_9 Depth=1
	v_div_scale_f32 v14, s[0:1], v13, v13, v12
	v_rcp_f32_e32 v15, v14
	v_div_scale_f32 v16, vcc, v12, v13, v12
	v_fma_f32 v17, -v14, v15, 1.0
	v_fmac_f32_e32 v15, v17, v15
	v_mul_f32_e32 v17, v16, v15
	v_fma_f32 v18, -v14, v17, v16
	v_fmac_f32_e32 v17, v18, v15
	v_fma_f32 v14, -v14, v17, v16
	v_div_fmas_f32 v14, v14, v15, v17
	v_div_fixup_f32 v14, v14, v13, v12
	v_fma_f32 v15, v12, v14, v13
	v_div_scale_f32 v16, s[0:1], v15, v15, 1.0
	v_rcp_f32_e32 v17, v16
	s_nop 0
	v_fma_f32 v18, -v16, v17, 1.0
	v_fmac_f32_e32 v17, v18, v17
	v_div_scale_f32 v18, vcc, 1.0, v15, 1.0
	v_mul_f32_e32 v19, v18, v17
	v_fma_f32 v20, -v16, v19, v18
	v_fmac_f32_e32 v19, v20, v17
	v_fma_f32 v16, -v16, v19, v18
	v_div_fmas_f32 v16, v16, v17, v19
	v_div_fixup_f32 v15, v16, v15, 1.0
	v_mul_f32_e32 v14, v14, v15
	v_xor_b32_e32 v15, 0x80000000, v15
	s_cbranch_execz .LBB6_24
	s_branch .LBB6_25
.LBB6_21:                               ;   in Loop: Header=BB6_9 Depth=1
                                        ; implicit-def: $vgpr15
	s_branch .LBB6_26
.LBB6_22:                               ;   in Loop: Header=BB6_9 Depth=1
	v_mov_b32_e32 v12, v14
	v_mov_b32_e32 v13, v15
	s_and_saveexec_b64 s[0:1], s[2:3]
	s_cbranch_execnz .LBB6_27
	s_branch .LBB6_28
.LBB6_23:                               ;   in Loop: Header=BB6_9 Depth=1
                                        ; implicit-def: $vgpr15
.LBB6_24:                               ;   in Loop: Header=BB6_9 Depth=1
	v_div_scale_f32 v14, s[0:1], v12, v12, v13
	v_rcp_f32_e32 v15, v14
	v_div_scale_f32 v16, vcc, v13, v12, v13
	v_fma_f32 v17, -v14, v15, 1.0
	v_fmac_f32_e32 v15, v17, v15
	v_mul_f32_e32 v17, v16, v15
	v_fma_f32 v18, -v14, v17, v16
	v_fmac_f32_e32 v17, v18, v15
	v_fma_f32 v14, -v14, v17, v16
	v_div_fmas_f32 v14, v14, v15, v17
	v_div_fixup_f32 v15, v14, v12, v13
	v_fma_f32 v14, v13, v15, v12
	v_div_scale_f32 v16, s[0:1], v14, v14, 1.0
	v_rcp_f32_e32 v17, v16
	s_nop 0
	v_fma_f32 v18, -v16, v17, 1.0
	v_fmac_f32_e32 v17, v18, v17
	v_div_scale_f32 v18, vcc, 1.0, v14, 1.0
	v_mul_f32_e32 v19, v18, v17
	v_fma_f32 v20, -v16, v19, v18
	v_fmac_f32_e32 v19, v20, v17
	v_fma_f32 v16, -v16, v19, v18
	v_div_fmas_f32 v16, v16, v17, v19
	v_div_fixup_f32 v14, v16, v14, 1.0
	v_mul_f32_e64 v15, v15, -v14
.LBB6_25:                               ;   in Loop: Header=BB6_9 Depth=1
	s_cbranch_execnz .LBB6_22
.LBB6_26:                               ;   in Loop: Header=BB6_9 Depth=1
	s_add_u32 s0, s44, 1
	s_addc_u32 s1, s45, 0
	s_cmp_eq_u64 s[12:13], 0
	s_cselect_b32 s13, s1, s13
	s_cselect_b32 s12, s0, s12
	v_mov_b64_e32 v[14:15], v[12:13]
	s_mov_b64 s[46:47], s[44:45]
	s_and_saveexec_b64 s[0:1], s[2:3]
	s_cbranch_execz .LBB6_28
.LBB6_27:                               ;   in Loop: Header=BB6_9 Depth=1
	s_lshl_b64 s[8:9], s[44:45], 3
	s_add_u32 s8, s53, s8
	s_addc_u32 s9, s54, s9
	s_add_u32 s48, s55, s46
	s_addc_u32 s49, s56, s47
	v_mov_b64_e32 v[16:17], s[48:49]
	global_store_dwordx2 v1, v[16:17], s[8:9]
.LBB6_28:                               ;   in Loop: Header=BB6_9 Depth=1
	s_or_b64 exec, exec, s[0:1]
	v_cmp_eq_u64_e32 vcc, s[46:47], v[2:3]
	v_cmp_ne_u64_e64 s[0:1], s[46:47], v[2:3]
	s_and_saveexec_b64 s[8:9], s[0:1]
	s_cbranch_execz .LBB6_32
; %bb.29:                               ;   in Loop: Header=BB6_9 Depth=1
	ds_read_b64 v[16:17], v27
	v_cmp_le_u64_e64 s[0:1], s[44:45], v[2:3]
	s_and_b64 s[0:1], s[4:5], s[0:1]
	s_and_b64 s[48:49], s[10:11], s[0:1]
	s_waitcnt lgkmcnt(0)
	v_pk_mul_f32 v[18:19], v[14:15], v[16:17] op_sel:[1,1] op_sel_hi:[1,0]
	s_nop 0
	v_pk_fma_f32 v[12:13], v[14:15], v[16:17], v[18:19] op_sel_hi:[0,1,1] neg_lo:[0,0,1] neg_hi:[0,0,1]
	v_pk_fma_f32 v[14:15], v[14:15], v[16:17], v[18:19] op_sel_hi:[0,1,1]
	s_and_saveexec_b64 s[0:1], s[48:49]
	s_cbranch_execz .LBB6_31
; %bb.30:                               ;   in Loop: Header=BB6_9 Depth=1
	s_mul_i32 s48, s44, s21
	s_mul_hi_u32 s49, s44, s20
	s_add_i32 s48, s49, s48
	s_mul_i32 s49, s45, s20
	s_add_i32 s49, s48, s49
	s_mul_i32 s48, s44, s20
	v_mov_b32_e32 v13, v15
	v_lshl_add_u64 v[16:17], s[48:49], 3, v[4:5]
	global_store_dwordx2 v[16:17], v[12:13], off
.LBB6_31:                               ;   in Loop: Header=BB6_9 Depth=1
	s_or_b64 exec, exec, s[0:1]
	v_mov_b32_e32 v13, v15
.LBB6_32:                               ;   in Loop: Header=BB6_9 Depth=1
	s_or_b64 exec, exec, s[8:9]
	v_lshl_add_u64 v[14:15], s[46:47], 3, v[6:7]
	s_and_saveexec_b64 s[8:9], s[26:27]
	s_cbranch_execz .LBB6_35
; %bb.33:                               ;   in Loop: Header=BB6_9 Depth=1
	global_load_dwordx2 v[16:17], v[14:15], off
	v_cmp_eq_u64_e64 s[0:1], s[44:45], v[2:3]
	s_waitcnt vmcnt(0)
	ds_write_b64 v28, v[16:17]
	s_and_b64 exec, exec, s[0:1]
; %bb.34:                               ;   in Loop: Header=BB6_9 Depth=1
	ds_write_b64 v1, v[12:13]
.LBB6_35:                               ;   in Loop: Header=BB6_9 Depth=1
	s_or_b64 exec, exec, s[8:9]
	s_cmp_lg_u64 s[46:47], s[44:45]
	s_cselect_b64 s[0:1], -1, 0
	s_and_b64 s[0:1], s[26:27], s[0:1]
	s_waitcnt lgkmcnt(0)
	s_barrier
	s_and_saveexec_b64 s[48:49], s[0:1]
	s_cbranch_execz .LBB6_45
; %bb.36:                               ;   in Loop: Header=BB6_9 Depth=1
	s_mov_b64 s[0:1], src_shared_base
	v_lshl_add_u64 v[16:17], s[44:45], 3, v[6:7]
	v_mov_b32_e32 v18, s1
	v_cmp_ne_u64_e64 s[0:1], s[44:45], v[2:3]
	v_cmp_ge_u64_e64 s[8:9], s[44:45], v[2:3]
                                        ; implicit-def: $vgpr20_vgpr21
	s_nop 0
	v_cndmask_b32_e64 v19, v18, v17, s[0:1]
	v_cndmask_b32_e64 v18, 0, v16, s[0:1]
	flat_load_dwordx2 v[18:19], v[18:19]
	s_and_saveexec_b64 s[50:51], s[8:9]
	s_xor_b64 s[8:9], exec, s[50:51]
; %bb.37:                               ;   in Loop: Header=BB6_9 Depth=1
	ds_read_b64 v[20:21], v28
; %bb.38:                               ;   in Loop: Header=BB6_9 Depth=1
	s_or_saveexec_b64 s[8:9], s[8:9]
	v_mov_b32_e32 v22, 0
	v_mov_b32_e32 v23, 0
	s_xor_b64 exec, exec, s[8:9]
	s_cbranch_execz .LBB6_40
; %bb.39:                               ;   in Loop: Header=BB6_9 Depth=1
	ds_read_b64 v[22:23], v1
	s_waitcnt lgkmcnt(0)
	ds_read_b64 v[20:21], v28
	s_waitcnt lgkmcnt(0)
	v_pk_mul_f32 v[34:35], v[20:21], v[22:23] op_sel:[1,1] op_sel_hi:[0,1]
	v_pk_mul_f32 v[36:37], v[20:21], v[22:23] op_sel_hi:[1,0]
	v_pk_fma_f32 v[22:23], v[20:21], v[22:23], v[34:35] op_sel_hi:[1,0,1]
	s_nop 0
	v_sub_f32_e32 v22, v36, v34
.LBB6_40:                               ;   in Loop: Header=BB6_9 Depth=1
	s_or_b64 exec, exec, s[8:9]
	s_add_u32 s8, s44, 1
	s_addc_u32 s9, s45, 0
	s_waitcnt vmcnt(0) lgkmcnt(0)
	v_pk_add_f32 v[18:19], v[18:19], v[22:23] neg_lo:[0,1] neg_hi:[0,1]
	v_cmp_eq_u64_e64 s[8:9], s[8:9], v[2:3]
	global_store_dwordx2 v[14:15], v[18:19], off
	global_store_dwordx2 v[16:17], v[20:21], off
	s_and_saveexec_b64 s[50:51], s[8:9]
	s_cbranch_execz .LBB6_42
; %bb.41:                               ;   in Loop: Header=BB6_9 Depth=1
	s_lshl_b32 s8, s46, 3
	s_add_i32 s8, s8, 8
	v_mov_b32_e32 v14, s8
	v_cmp_gt_f32_e64 s[8:9], 0, v18
	ds_write_b64 v14, v[18:19]
	s_nop 0
	v_cndmask_b32_e64 v14, v18, -v18, s[8:9]
	v_cmp_gt_f32_e64 s[8:9], 0, v19
	s_nop 1
	v_cndmask_b32_e64 v15, v19, -v19, s[8:9]
	s_lshl_b32 s8, s46, 2
	s_add_i32 s8, s52, s8
	v_add_f32_e32 v24, v15, v14
	v_mov_b32_e32 v14, s8
	ds_write_b32 v14, v24
.LBB6_42:                               ;   in Loop: Header=BB6_9 Depth=1
	s_or_b64 exec, exec, s[50:51]
	s_nor_b64 s[8:9], s[40:41], s[0:1]
	s_and_saveexec_b64 s[0:1], s[8:9]
	s_cbranch_execz .LBB6_44
; %bb.43:                               ;   in Loop: Header=BB6_9 Depth=1
	s_lshl_b64 s[8:9], s[46:47], 3
	s_add_u32 s8, s42, s8
	s_addc_u32 s9, s43, s9
	global_load_dwordx2 v[14:15], v1, s[8:9]
	global_load_dwordx2 v[16:17], v[8:9], off
	s_waitcnt vmcnt(1)
	global_store_dwordx2 v[8:9], v[14:15], off
	s_waitcnt vmcnt(1)
	global_store_dwordx2 v1, v[16:17], s[8:9]
.LBB6_44:                               ;   in Loop: Header=BB6_9 Depth=1
	s_or_b64 exec, exec, s[0:1]
.LBB6_45:                               ;   in Loop: Header=BB6_9 Depth=1
	s_or_b64 exec, exec, s[48:49]
	v_cmp_ge_u64_e64 s[8:9], s[44:45], v[2:3]
	s_or_b64 s[0:1], s[6:7], s[8:9]
	s_nor_b64 s[46:47], s[0:1], vcc
	s_and_saveexec_b64 s[0:1], s[46:47]
	s_cbranch_execnz .LBB6_48
; %bb.46:                               ;   in Loop: Header=BB6_9 Depth=1
	s_or_b64 exec, exec, s[0:1]
	s_and_b64 s[8:9], s[10:11], s[8:9]
	s_and_saveexec_b64 s[0:1], s[8:9]
	s_cbranch_execnz .LBB6_54
.LBB6_47:                               ;   in Loop: Header=BB6_9 Depth=1
	s_or_b64 exec, exec, s[0:1]
	s_and_saveexec_b64 s[0:1], s[10:11]
	s_cbranch_execz .LBB6_8
	s_branch .LBB6_55
.LBB6_48:                               ;   in Loop: Header=BB6_9 Depth=1
	v_lshl_add_u64 v[14:15], s[44:45], 0, v[0:1]
	v_cmp_gt_i64_e32 vcc, s[14:15], v[14:15]
	s_and_saveexec_b64 s[46:47], vcc
	s_cbranch_execz .LBB6_51
; %bb.49:                               ;   in Loop: Header=BB6_9 Depth=1
	v_mov_b32_e32 v16, v13
	v_mov_b32_e32 v17, v13
	;; [unrolled: 1-line block ×4, first 2 shown]
	s_mov_b64 s[48:49], 0
	v_mov_b32_e32 v22, v29
	v_mov_b64_e32 v[20:21], v[10:11]
.LBB6_50:                               ;   Parent Loop BB6_9 Depth=1
                                        ; =>  This Inner Loop Header: Depth=2
	global_load_dwordx2 v[34:35], v[20:21], off
	ds_read_b64 v[36:37], v22
	v_lshl_add_u64 v[14:15], v[14:15], 0, s[18:19]
	v_cmp_le_i64_e32 vcc, s[14:15], v[14:15]
	s_or_b64 s[48:49], vcc, s[48:49]
	v_add_u32_e32 v22, s57, v22
	s_waitcnt lgkmcnt(0)
	v_pk_mul_f32 v[38:39], v[16:17], v[36:37] op_sel:[0,1] op_sel_hi:[1,0]
	s_nop 0
	v_pk_fma_f32 v[40:41], v[18:19], v[36:37], v[38:39] neg_lo:[0,0,1] neg_hi:[0,0,1]
	v_pk_fma_f32 v[36:37], v[18:19], v[36:37], v[38:39]
	s_nop 0
	v_mov_b32_e32 v41, v37
	s_waitcnt vmcnt(0)
	v_pk_add_f32 v[34:35], v[34:35], v[40:41] neg_lo:[0,1] neg_hi:[0,1]
	global_store_dwordx2 v[20:21], v[34:35], off
	v_lshl_add_u64 v[20:21], v[20:21], 0, s[36:37]
	s_andn2_b64 exec, exec, s[48:49]
	s_cbranch_execnz .LBB6_50
.LBB6_51:                               ;   in Loop: Header=BB6_9 Depth=1
	s_or_b64 exec, exec, s[46:47]
	v_mov_b64_e32 v[14:15], s[30:31]
	v_cmp_lt_i64_e32 vcc, s[44:45], v[14:15]
	s_and_b64 s[48:49], s[10:11], vcc
	s_and_saveexec_b64 s[46:47], s[48:49]
	s_cbranch_execz .LBB6_53
; %bb.52:                               ;   in Loop: Header=BB6_9 Depth=1
	s_add_u32 s48, s44, 1
	s_addc_u32 s49, s45, 0
	s_mul_i32 s50, s48, s21
	s_mul_hi_u32 s51, s48, s20
	s_add_i32 s50, s51, s50
	s_mul_i32 s49, s49, s20
	s_add_i32 s49, s50, s49
	s_mul_i32 s48, s48, s20
	v_lshl_add_u64 v[14:15], s[48:49], 3, v[4:5]
	global_load_dwordx2 v[16:17], v[14:15], off
	s_lshl_b32 s48, s44, 3
	s_add_i32 s48, s33, s48
	v_mov_b32_e32 v18, s48
	ds_read_b64 v[18:19], v18 offset:8
	s_waitcnt lgkmcnt(0)
	v_pk_mul_f32 v[20:21], v[12:13], v[18:19] op_sel:[1,1] op_sel_hi:[1,0]
	s_nop 0
	v_pk_fma_f32 v[22:23], v[12:13], v[18:19], v[20:21] neg_lo:[0,0,1] neg_hi:[0,0,1]
	v_pk_fma_f32 v[12:13], v[12:13], v[18:19], v[20:21] op_sel_hi:[0,1,1]
	v_mov_b32_e32 v23, v13
	s_waitcnt vmcnt(0)
	v_pk_add_f32 v[12:13], v[16:17], v[22:23] neg_lo:[0,1] neg_hi:[0,1]
	s_nop 0
	v_cmp_gt_f32_e32 vcc, 0, v13
	global_store_dwordx2 v[14:15], v[12:13], off
	ds_write_b64 v27, v[12:13]
	v_cndmask_b32_e64 v13, v13, -v13, vcc
	v_cmp_gt_f32_e32 vcc, 0, v12
	s_nop 1
	v_cndmask_b32_e64 v12, v12, -v12, vcc
	v_add_f32_e32 v24, v12, v13
	ds_write_b32 v25, v24
.LBB6_53:                               ;   in Loop: Header=BB6_9 Depth=1
	s_or_b64 exec, exec, s[46:47]
	s_or_b64 exec, exec, s[0:1]
	s_and_b64 s[8:9], s[10:11], s[8:9]
	s_and_saveexec_b64 s[0:1], s[8:9]
	s_cbranch_execz .LBB6_47
.LBB6_54:                               ;   in Loop: Header=BB6_9 Depth=1
	v_mov_b32_e32 v24, 0
	ds_write_b64 v27, v[32:33]
	ds_write_b32 v25, v1
	s_or_b64 exec, exec, s[0:1]
	s_and_saveexec_b64 s[0:1], s[10:11]
	s_cbranch_execz .LBB6_8
.LBB6_55:                               ;   in Loop: Header=BB6_9 Depth=1
	ds_write_b64 v26, v[2:3]
	s_branch .LBB6_8
.LBB6_56:
	s_mov_b64 s[12:13], 0
.LBB6_57:
	v_cmp_eq_u32_e32 vcc, 0, v2
	s_and_saveexec_b64 s[0:1], vcc
	s_cbranch_execz .LBB6_60
; %bb.58:
	s_lshl_b64 s[0:1], s[34:35], 3
	s_waitcnt lgkmcnt(0)
	s_add_u32 s0, s38, s0
	s_addc_u32 s1, s39, s1
	v_mov_b32_e32 v0, 0
	global_load_dwordx2 v[2:3], v0, s[0:1]
	v_cmp_gt_i64_e64 s[4:5], s[12:13], 0
	s_waitcnt vmcnt(0)
	v_readfirstlane_b32 s2, v2
	v_readfirstlane_b32 s3, v3
	s_cmp_eq_u64 s[2:3], 0
	s_cselect_b64 s[2:3], -1, 0
	s_and_b64 s[2:3], s[2:3], s[4:5]
	s_and_b64 s[2:3], s[10:11], s[2:3]
	s_and_b64 exec, exec, s[2:3]
	s_cbranch_execz .LBB6_60
; %bb.59:
	s_add_u32 s2, s12, s28
	s_addc_u32 s3, s13, s29
	v_mov_b64_e32 v[2:3], s[2:3]
	global_store_dwordx2 v0, v[2:3], s[0:1]
.LBB6_60:
	s_endpgm
	.section	.rodata,"a",@progbits
	.p2align	6, 0x0
	.amdhsa_kernel _ZN9rocsolver6v33100L18getf2_panel_kernelI19rocblas_complex_numIfEllPS3_EEvT0_S5_T2_lS5_lPS5_llPT1_S5_S5_S7_l
		.amdhsa_group_segment_fixed_size 8
		.amdhsa_private_segment_fixed_size 0
		.amdhsa_kernarg_size 368
		.amdhsa_user_sgpr_count 2
		.amdhsa_user_sgpr_dispatch_ptr 0
		.amdhsa_user_sgpr_queue_ptr 0
		.amdhsa_user_sgpr_kernarg_segment_ptr 1
		.amdhsa_user_sgpr_dispatch_id 0
		.amdhsa_user_sgpr_kernarg_preload_length 0
		.amdhsa_user_sgpr_kernarg_preload_offset 0
		.amdhsa_user_sgpr_private_segment_size 0
		.amdhsa_uses_dynamic_stack 0
		.amdhsa_enable_private_segment 0
		.amdhsa_system_sgpr_workgroup_id_x 1
		.amdhsa_system_sgpr_workgroup_id_y 0
		.amdhsa_system_sgpr_workgroup_id_z 1
		.amdhsa_system_sgpr_workgroup_info 0
		.amdhsa_system_vgpr_workitem_id 1
		.amdhsa_next_free_vgpr 42
		.amdhsa_next_free_sgpr 58
		.amdhsa_accum_offset 44
		.amdhsa_reserve_vcc 1
		.amdhsa_float_round_mode_32 0
		.amdhsa_float_round_mode_16_64 0
		.amdhsa_float_denorm_mode_32 3
		.amdhsa_float_denorm_mode_16_64 3
		.amdhsa_dx10_clamp 1
		.amdhsa_ieee_mode 1
		.amdhsa_fp16_overflow 0
		.amdhsa_tg_split 0
		.amdhsa_exception_fp_ieee_invalid_op 0
		.amdhsa_exception_fp_denorm_src 0
		.amdhsa_exception_fp_ieee_div_zero 0
		.amdhsa_exception_fp_ieee_overflow 0
		.amdhsa_exception_fp_ieee_underflow 0
		.amdhsa_exception_fp_ieee_inexact 0
		.amdhsa_exception_int_div_zero 0
	.end_amdhsa_kernel
	.section	.text._ZN9rocsolver6v33100L18getf2_panel_kernelI19rocblas_complex_numIfEllPS3_EEvT0_S5_T2_lS5_lPS5_llPT1_S5_S5_S7_l,"axG",@progbits,_ZN9rocsolver6v33100L18getf2_panel_kernelI19rocblas_complex_numIfEllPS3_EEvT0_S5_T2_lS5_lPS5_llPT1_S5_S5_S7_l,comdat
.Lfunc_end6:
	.size	_ZN9rocsolver6v33100L18getf2_panel_kernelI19rocblas_complex_numIfEllPS3_EEvT0_S5_T2_lS5_lPS5_llPT1_S5_S5_S7_l, .Lfunc_end6-_ZN9rocsolver6v33100L18getf2_panel_kernelI19rocblas_complex_numIfEllPS3_EEvT0_S5_T2_lS5_lPS5_llPT1_S5_S5_S7_l
                                        ; -- End function
	.set _ZN9rocsolver6v33100L18getf2_panel_kernelI19rocblas_complex_numIfEllPS3_EEvT0_S5_T2_lS5_lPS5_llPT1_S5_S5_S7_l.num_vgpr, 42
	.set _ZN9rocsolver6v33100L18getf2_panel_kernelI19rocblas_complex_numIfEllPS3_EEvT0_S5_T2_lS5_lPS5_llPT1_S5_S5_S7_l.num_agpr, 0
	.set _ZN9rocsolver6v33100L18getf2_panel_kernelI19rocblas_complex_numIfEllPS3_EEvT0_S5_T2_lS5_lPS5_llPT1_S5_S5_S7_l.numbered_sgpr, 58
	.set _ZN9rocsolver6v33100L18getf2_panel_kernelI19rocblas_complex_numIfEllPS3_EEvT0_S5_T2_lS5_lPS5_llPT1_S5_S5_S7_l.num_named_barrier, 0
	.set _ZN9rocsolver6v33100L18getf2_panel_kernelI19rocblas_complex_numIfEllPS3_EEvT0_S5_T2_lS5_lPS5_llPT1_S5_S5_S7_l.private_seg_size, 0
	.set _ZN9rocsolver6v33100L18getf2_panel_kernelI19rocblas_complex_numIfEllPS3_EEvT0_S5_T2_lS5_lPS5_llPT1_S5_S5_S7_l.uses_vcc, 1
	.set _ZN9rocsolver6v33100L18getf2_panel_kernelI19rocblas_complex_numIfEllPS3_EEvT0_S5_T2_lS5_lPS5_llPT1_S5_S5_S7_l.uses_flat_scratch, 0
	.set _ZN9rocsolver6v33100L18getf2_panel_kernelI19rocblas_complex_numIfEllPS3_EEvT0_S5_T2_lS5_lPS5_llPT1_S5_S5_S7_l.has_dyn_sized_stack, 0
	.set _ZN9rocsolver6v33100L18getf2_panel_kernelI19rocblas_complex_numIfEllPS3_EEvT0_S5_T2_lS5_lPS5_llPT1_S5_S5_S7_l.has_recursion, 0
	.set _ZN9rocsolver6v33100L18getf2_panel_kernelI19rocblas_complex_numIfEllPS3_EEvT0_S5_T2_lS5_lPS5_llPT1_S5_S5_S7_l.has_indirect_call, 0
	.section	.AMDGPU.csdata,"",@progbits
; Kernel info:
; codeLenInByte = 2640
; TotalNumSgprs: 64
; NumVgprs: 42
; NumAgprs: 0
; TotalNumVgprs: 42
; ScratchSize: 0
; MemoryBound: 1
; FloatMode: 240
; IeeeMode: 1
; LDSByteSize: 8 bytes/workgroup (compile time only)
; SGPRBlocks: 7
; VGPRBlocks: 5
; NumSGPRsForWavesPerEU: 64
; NumVGPRsForWavesPerEU: 42
; AccumOffset: 44
; Occupancy: 8
; WaveLimiterHint : 0
; COMPUTE_PGM_RSRC2:SCRATCH_EN: 0
; COMPUTE_PGM_RSRC2:USER_SGPR: 2
; COMPUTE_PGM_RSRC2:TRAP_HANDLER: 0
; COMPUTE_PGM_RSRC2:TGID_X_EN: 1
; COMPUTE_PGM_RSRC2:TGID_Y_EN: 0
; COMPUTE_PGM_RSRC2:TGID_Z_EN: 1
; COMPUTE_PGM_RSRC2:TIDIG_COMP_CNT: 1
; COMPUTE_PGM_RSRC3_GFX90A:ACCUM_OFFSET: 10
; COMPUTE_PGM_RSRC3_GFX90A:TG_SPLIT: 0
	.section	.text._ZN9rocsolver6v33100L23getf2_npvt_panel_kernelI19rocblas_complex_numIfEllPS3_EEvT0_S5_T2_lS5_lPT1_S5_S5_,"axG",@progbits,_ZN9rocsolver6v33100L23getf2_npvt_panel_kernelI19rocblas_complex_numIfEllPS3_EEvT0_S5_T2_lS5_lPT1_S5_S5_,comdat
	.globl	_ZN9rocsolver6v33100L23getf2_npvt_panel_kernelI19rocblas_complex_numIfEllPS3_EEvT0_S5_T2_lS5_lPT1_S5_S5_ ; -- Begin function _ZN9rocsolver6v33100L23getf2_npvt_panel_kernelI19rocblas_complex_numIfEllPS3_EEvT0_S5_T2_lS5_lPT1_S5_S5_
	.p2align	8
	.type	_ZN9rocsolver6v33100L23getf2_npvt_panel_kernelI19rocblas_complex_numIfEllPS3_EEvT0_S5_T2_lS5_lPT1_S5_S5_,@function
_ZN9rocsolver6v33100L23getf2_npvt_panel_kernelI19rocblas_complex_numIfEllPS3_EEvT0_S5_T2_lS5_lPT1_S5_S5_: ; @_ZN9rocsolver6v33100L23getf2_npvt_panel_kernelI19rocblas_complex_numIfEllPS3_EEvT0_S5_T2_lS5_lPT1_S5_S5_
; %bb.0:
	s_load_dwordx8 s[16:23], s[0:1], 0x0
	s_load_dwordx8 s[8:15], s[0:1], 0x20
	s_mov_b32 s24, s3
	s_waitcnt lgkmcnt(0)
	s_load_dword s14, s[0:1], 0x54
	v_mov_b32_e32 v4, 0
	v_bfe_u32 v12, v0, 10, 10
	s_mul_i32 s2, s11, s3
	s_mul_hi_u32 s3, s10, s3
	s_add_i32 s3, s3, s2
	s_mul_i32 s2, s10, s24
	s_lshl_b64 s[6:7], s[2:3], 3
	s_add_u32 s2, s20, s6
	s_addc_u32 s3, s21, s7
	s_lshl_b64 s[26:27], s[22:23], 3
	s_add_u32 s22, s2, s26
	s_mov_b32 s25, 0
	v_and_b32_e32 v2, 0x3ff, v0
	v_mov_b32_e32 v3, v4
	s_addc_u32 s23, s3, s27
	v_cmp_eq_u32_e64 s[2:3], 0, v12
	s_and_saveexec_b64 s[4:5], s[2:3]
	s_cbranch_execz .LBB7_4
; %bb.1:
	v_cmp_gt_i64_e32 vcc, s[16:17], v[2:3]
	v_mov_b32_e32 v5, 0
	s_and_saveexec_b64 s[10:11], vcc
	s_cbranch_execz .LBB7_3
; %bb.2:
	v_lshlrev_b32_e32 v0, 3, v2
	global_load_dwordx2 v[4:5], v0, s[22:23]
.LBB7_3:
	s_or_b64 exec, exec, s[10:11]
	v_lshl_add_u32 v0, v2, 3, 0
	s_waitcnt vmcnt(0)
	ds_write_b64 v0, v[4:5]
.LBB7_4:
	s_or_b64 exec, exec, s[4:5]
	v_cmp_lt_i64_e64 s[4:5], s[18:19], 1
	s_and_b64 vcc, exec, s[4:5]
	s_cbranch_vccnz .LBB7_29
; %bb.5:
	s_waitcnt lgkmcnt(0)
	s_and_b32 s4, s14, 0xffff
	s_lshl_b32 s4, s4, 3
	s_add_i32 s33, s4, 0
	v_cmp_gt_i64_e64 s[4:5], s[16:17], v[2:3]
	v_mad_u64_u32 v[6:7], s[16:17], s8, v2, 0
	v_mov_b32_e32 v8, v7
	v_cmp_gt_u64_e32 vcc, s[18:19], v[2:3]
	v_mad_u64_u32 v[8:9], s[16:17], s9, v2, v[8:9]
	v_lshlrev_b32_e32 v0, 3, v2
	v_mov_b32_e32 v1, 0
	s_lshr_b32 s10, s14, 16
	s_and_b64 s[14:15], s[2:3], vcc
	v_mov_b32_e32 v7, v8
	v_add_u32_e32 v8, 2, v12
	v_lshl_add_u64 v[4:5], s[22:23], 0, v[0:1]
	v_lshl_add_u64 v[6:7], v[6:7], 3, s[22:23]
	s_add_u32 s22, s18, -1
	v_mad_u64_u32 v[10:11], s[16:17], s8, v8, 0
	s_addc_u32 s23, s19, -1
	v_mov_b32_e32 v14, v11
	v_mad_u64_u32 v[14:15], s[16:17], s9, v8, v[14:15]
	s_add_u32 s6, s26, s6
	v_mov_b32_e32 v11, v14
	s_addc_u32 s7, s27, s7
	v_lshl_add_u64 v[10:11], v[10:11], 3, s[6:7]
	s_mul_i32 s6, s9, s10
	s_mul_hi_u32 s7, s8, s10
	v_add_u32_e32 v22, 0, v0
	v_add_u32_e32 v23, s33, v0
	v_lshl_add_u64 v[10:11], v[10:11], 0, v[0:1]
	s_add_i32 s7, s7, s6
	s_mul_i32 s6, s8, s10
	v_lshlrev_b32_e32 v0, 3, v12
	s_mov_b32 s11, 0
	v_mov_b32_e32 v9, v1
	v_lshl_add_u64 v[10:11], s[20:21], 0, v[10:11]
	s_lshl_b64 s[20:21], s[8:9], 3
	s_lshl_b64 s[26:27], s[6:7], 3
	v_add3_u32 v24, s33, v0, 16
	s_lshl_b32 s36, s10, 3
	s_mov_b64 s[16:17], 0
	v_mov_b32_e32 v0, v1
	s_mov_b64 s[28:29], 0
	s_branch .LBB7_7
.LBB7_6:                                ;   in Loop: Header=BB7_7 Depth=1
	s_or_b64 exec, exec, s[6:7]
	s_add_u32 s28, s28, 1
	s_addc_u32 s29, s29, 0
	v_lshl_add_u64 v[10:11], v[10:11], 0, s[20:21]
	s_cmp_eq_u64 s[28:29], s[18:19]
	v_add_u32_e32 v24, 8, v24
	s_cbranch_scc1 .LBB7_30
.LBB7_7:                                ; =>This Loop Header: Depth=1
                                        ;     Child Loop BB7_21 Depth 2
	s_lshl_b32 s37, s28, 3
	s_add_i32 s6, s37, 0
	v_mov_b32_e32 v12, s6
	s_barrier
	ds_read_b64 v[14:15], v12
	s_waitcnt lgkmcnt(0)
	v_cmp_eq_f32_e32 vcc, 0, v14
	v_cmp_eq_f32_e64 s[6:7], 0, v15
	s_and_b64 s[6:7], vcc, s[6:7]
	s_cmp_eq_u64 s[16:17], 0
	s_cselect_b64 s[30:31], -1, 0
	s_and_b64 s[6:7], s[6:7], s[30:31]
	s_andn2_b64 vcc, exec, s[6:7]
	s_cbranch_vccz .LBB7_10
; %bb.8:                                ;   in Loop: Header=BB7_7 Depth=1
	v_cmp_ngt_f32_e64 s[6:7], |v14|, |v15|
	s_and_b64 vcc, exec, s[6:7]
	s_cbranch_vccz .LBB7_11
; %bb.9:                                ;   in Loop: Header=BB7_7 Depth=1
	v_div_scale_f32 v12, s[6:7], v15, v15, v14
	v_rcp_f32_e32 v13, v12
	v_div_scale_f32 v16, vcc, v14, v15, v14
	v_fma_f32 v17, -v12, v13, 1.0
	v_fmac_f32_e32 v13, v17, v13
	v_mul_f32_e32 v17, v16, v13
	v_fma_f32 v18, -v12, v17, v16
	v_fmac_f32_e32 v17, v18, v13
	v_fma_f32 v12, -v12, v17, v16
	v_div_fmas_f32 v12, v12, v13, v17
	v_div_fixup_f32 v12, v12, v15, v14
	v_fma_f32 v13, v14, v12, v15
	v_div_scale_f32 v16, s[6:7], v13, v13, 1.0
	v_rcp_f32_e32 v17, v16
	s_nop 0
	v_fma_f32 v18, -v16, v17, 1.0
	v_fmac_f32_e32 v17, v18, v17
	v_div_scale_f32 v18, vcc, 1.0, v13, 1.0
	v_mul_f32_e32 v19, v18, v17
	v_fma_f32 v20, -v16, v19, v18
	v_fmac_f32_e32 v19, v20, v17
	v_fma_f32 v16, -v16, v19, v18
	v_div_fmas_f32 v16, v16, v17, v19
	v_div_fixup_f32 v13, v16, v13, 1.0
	v_mul_f32_e32 v16, v12, v13
	v_xor_b32_e32 v17, 0x80000000, v13
	v_mov_b32_e32 v12, v16
	v_mov_b64_e32 v[18:19], v[16:17]
	s_cbranch_execz .LBB7_12
	s_branch .LBB7_13
.LBB7_10:                               ;   in Loop: Header=BB7_7 Depth=1
                                        ; implicit-def: $vgpr17
                                        ; implicit-def: $vgpr12
                                        ; implicit-def: $vgpr18_vgpr19
	s_branch .LBB7_14
.LBB7_11:                               ;   in Loop: Header=BB7_7 Depth=1
                                        ; implicit-def: $vgpr17
                                        ; implicit-def: $vgpr12
                                        ; implicit-def: $vgpr18_vgpr19
.LBB7_12:                               ;   in Loop: Header=BB7_7 Depth=1
	v_div_scale_f32 v12, s[6:7], v14, v14, v15
	v_rcp_f32_e32 v13, v12
	v_div_scale_f32 v16, vcc, v15, v14, v15
	v_fma_f32 v17, -v12, v13, 1.0
	v_fmac_f32_e32 v13, v17, v13
	v_mul_f32_e32 v17, v16, v13
	v_fma_f32 v18, -v12, v17, v16
	v_fmac_f32_e32 v17, v18, v13
	v_fma_f32 v12, -v12, v17, v16
	v_div_fmas_f32 v12, v12, v13, v17
	v_div_fixup_f32 v12, v12, v14, v15
	v_fma_f32 v13, v15, v12, v14
	v_div_scale_f32 v16, s[6:7], v13, v13, 1.0
	v_rcp_f32_e32 v17, v16
	s_nop 0
	v_fma_f32 v18, -v16, v17, 1.0
	v_fmac_f32_e32 v17, v18, v17
	v_div_scale_f32 v18, vcc, 1.0, v13, 1.0
	v_mul_f32_e32 v19, v18, v17
	v_fma_f32 v20, -v16, v19, v18
	v_fmac_f32_e32 v19, v20, v17
	v_fma_f32 v16, -v16, v19, v18
	v_div_fmas_f32 v16, v16, v17, v19
	v_div_fixup_f32 v16, v16, v13, 1.0
	v_mul_f32_e64 v17, v12, -v16
	v_mov_b32_e32 v12, v16
	v_mov_b64_e32 v[18:19], v[16:17]
.LBB7_13:                               ;   in Loop: Header=BB7_7 Depth=1
	s_cbranch_execnz .LBB7_15
.LBB7_14:                               ;   in Loop: Header=BB7_7 Depth=1
	s_add_u32 s16, s28, 1
	s_addc_u32 s17, s29, 0
	v_mov_b64_e32 v[18:19], v[14:15]
	v_mov_b32_e32 v12, v14
	v_mov_b32_e32 v17, v15
.LBB7_15:                               ;   in Loop: Header=BB7_7 Depth=1
	v_cmp_ne_u64_e32 vcc, s[28:29], v[2:3]
	s_and_saveexec_b64 s[6:7], vcc
	s_cbranch_execnz .LBB7_26
; %bb.16:                               ;   in Loop: Header=BB7_7 Depth=1
	s_or_b64 exec, exec, s[6:7]
	s_and_saveexec_b64 s[6:7], s[14:15]
	s_cbranch_execz .LBB7_18
.LBB7_17:                               ;   in Loop: Header=BB7_7 Depth=1
	v_lshl_add_u64 v[14:15], s[28:29], 3, v[6:7]
	global_load_dwordx2 v[14:15], v[14:15], off
	s_waitcnt vmcnt(0)
	ds_write_b64 v23, v[14:15]
.LBB7_18:                               ;   in Loop: Header=BB7_7 Depth=1
	s_or_b64 exec, exec, s[6:7]
	v_cmp_lt_u64_e32 vcc, s[28:29], v[2:3]
	s_and_b64 s[30:31], s[4:5], vcc
	s_waitcnt lgkmcnt(0)
	s_barrier
	s_and_saveexec_b64 s[6:7], s[30:31]
	s_cbranch_execz .LBB7_24
; %bb.19:                               ;   in Loop: Header=BB7_7 Depth=1
	v_lshl_add_u64 v[14:15], s[28:29], 0, v[8:9]
	v_mov_b32_e32 v13, v17
	v_cmp_gt_i64_e32 vcc, s[18:19], v[14:15]
	s_and_saveexec_b64 s[30:31], vcc
	s_cbranch_execz .LBB7_22
; %bb.20:                               ;   in Loop: Header=BB7_7 Depth=1
	v_mov_b32_e32 v16, v17
	v_mov_b32_e32 v17, v13
	;; [unrolled: 1-line block ×4, first 2 shown]
	s_mov_b64 s[34:35], 0
	v_mov_b32_e32 v25, v24
	v_mov_b64_e32 v[20:21], v[10:11]
.LBB7_21:                               ;   Parent Loop BB7_7 Depth=1
                                        ; =>  This Inner Loop Header: Depth=2
	global_load_dwordx2 v[26:27], v[20:21], off
	ds_read_b64 v[28:29], v25
	v_lshl_add_u64 v[14:15], v[14:15], 0, s[10:11]
	v_cmp_le_i64_e32 vcc, s[18:19], v[14:15]
	s_or_b64 s[34:35], vcc, s[34:35]
	v_add_u32_e32 v25, s36, v25
	s_waitcnt lgkmcnt(0)
	v_pk_mul_f32 v[30:31], v[16:17], v[28:29] op_sel:[0,1] op_sel_hi:[1,0]
	s_nop 0
	v_pk_fma_f32 v[32:33], v[18:19], v[28:29], v[30:31] neg_lo:[0,0,1] neg_hi:[0,0,1]
	v_pk_fma_f32 v[28:29], v[18:19], v[28:29], v[30:31]
	s_nop 0
	v_mov_b32_e32 v33, v29
	s_waitcnt vmcnt(0)
	v_pk_add_f32 v[26:27], v[26:27], v[32:33] neg_lo:[0,1] neg_hi:[0,1]
	global_store_dwordx2 v[20:21], v[26:27], off
	v_lshl_add_u64 v[20:21], v[20:21], 0, s[26:27]
	s_andn2_b64 exec, exec, s[34:35]
	s_cbranch_execnz .LBB7_21
.LBB7_22:                               ;   in Loop: Header=BB7_7 Depth=1
	s_or_b64 exec, exec, s[30:31]
	v_mov_b64_e32 v[14:15], s[22:23]
	v_cmp_lt_i64_e32 vcc, s[28:29], v[14:15]
	s_and_b64 s[30:31], s[2:3], vcc
	s_and_b64 exec, exec, s[30:31]
	s_cbranch_execz .LBB7_24
; %bb.23:                               ;   in Loop: Header=BB7_7 Depth=1
	s_add_u32 s30, s28, 1
	s_addc_u32 s31, s29, 0
	s_mul_i32 s34, s30, s9
	s_mul_hi_u32 s35, s30, s8
	s_add_i32 s34, s35, s34
	s_mul_i32 s31, s31, s8
	s_add_i32 s31, s34, s31
	s_mul_i32 s30, s30, s8
	v_lshl_add_u64 v[14:15], s[30:31], 3, v[4:5]
	global_load_dwordx2 v[16:17], v[14:15], off
	s_add_i32 s30, s33, s37
	v_mov_b32_e32 v18, s30
	ds_read_b64 v[18:19], v18 offset:8
	s_waitcnt lgkmcnt(0)
	v_pk_mul_f32 v[20:21], v[12:13], v[18:19] op_sel:[1,1] op_sel_hi:[1,0]
	s_nop 0
	v_pk_fma_f32 v[26:27], v[12:13], v[18:19], v[20:21] neg_lo:[0,0,1] neg_hi:[0,0,1]
	v_pk_fma_f32 v[12:13], v[12:13], v[18:19], v[20:21] op_sel_hi:[0,1,1]
	v_mov_b32_e32 v27, v13
	s_waitcnt vmcnt(0)
	v_pk_add_f32 v[12:13], v[16:17], v[26:27] neg_lo:[0,1] neg_hi:[0,1]
	global_store_dwordx2 v[14:15], v[12:13], off
	ds_write_b64 v22, v[12:13]
.LBB7_24:                               ;   in Loop: Header=BB7_7 Depth=1
	s_or_b64 exec, exec, s[6:7]
	v_cmp_ge_u64_e32 vcc, s[28:29], v[2:3]
	s_and_b64 s[30:31], s[2:3], vcc
	s_and_saveexec_b64 s[6:7], s[30:31]
	s_cbranch_execz .LBB7_6
; %bb.25:                               ;   in Loop: Header=BB7_7 Depth=1
	ds_write_b64 v22, v[0:1]
	s_branch .LBB7_6
.LBB7_26:                               ;   in Loop: Header=BB7_7 Depth=1
	ds_read_b64 v[12:13], v22
	v_cmp_le_u64_e32 vcc, s[28:29], v[2:3]
	s_and_b64 s[30:31], s[4:5], vcc
	s_and_b64 s[34:35], s[2:3], s[30:31]
	s_waitcnt lgkmcnt(0)
	v_pk_mul_f32 v[14:15], v[18:19], v[12:13] op_sel:[1,1] op_sel_hi:[1,0]
	s_nop 0
	v_pk_fma_f32 v[16:17], v[18:19], v[12:13], v[14:15] op_sel_hi:[0,1,1]
	v_pk_fma_f32 v[12:13], v[18:19], v[12:13], v[14:15] op_sel_hi:[0,1,1] neg_lo:[0,0,1] neg_hi:[0,0,1]
	s_and_saveexec_b64 s[30:31], s[34:35]
	s_cbranch_execz .LBB7_28
; %bb.27:                               ;   in Loop: Header=BB7_7 Depth=1
	s_mul_i32 s34, s28, s9
	s_mul_hi_u32 s35, s28, s8
	s_add_i32 s34, s35, s34
	s_mul_i32 s35, s29, s8
	s_add_i32 s35, s34, s35
	s_mul_i32 s34, s28, s8
	v_mov_b32_e32 v13, v17
	v_lshl_add_u64 v[14:15], s[34:35], 3, v[4:5]
	global_store_dwordx2 v[14:15], v[12:13], off
.LBB7_28:                               ;   in Loop: Header=BB7_7 Depth=1
	s_or_b64 exec, exec, s[30:31]
	s_or_b64 exec, exec, s[6:7]
	s_and_saveexec_b64 s[6:7], s[14:15]
	s_cbranch_execnz .LBB7_17
	s_branch .LBB7_18
.LBB7_29:
	s_mov_b64 s[16:17], 0
.LBB7_30:
	v_cmp_eq_u32_e32 vcc, 0, v2
	s_and_saveexec_b64 s[4:5], vcc
	s_cbranch_execz .LBB7_33
; %bb.31:
	s_lshl_b64 s[4:5], s[24:25], 3
	s_add_u32 s4, s12, s4
	s_addc_u32 s5, s13, s5
	v_mov_b32_e32 v0, 0
	global_load_dwordx2 v[2:3], v0, s[4:5]
	v_cmp_gt_i64_e64 s[8:9], s[16:17], 0
	s_waitcnt vmcnt(0)
	v_readfirstlane_b32 s6, v2
	v_readfirstlane_b32 s7, v3
	s_cmp_eq_u64 s[6:7], 0
	s_cselect_b64 s[6:7], -1, 0
	s_and_b64 s[6:7], s[6:7], s[8:9]
	s_and_b64 s[2:3], s[2:3], s[6:7]
	s_and_b64 exec, exec, s[2:3]
	s_cbranch_execz .LBB7_33
; %bb.32:
	s_load_dwordx2 s[0:1], s[0:1], 0x40
	s_waitcnt lgkmcnt(0)
	s_add_u32 s0, s16, s0
	s_addc_u32 s1, s17, s1
	v_mov_b64_e32 v[2:3], s[0:1]
	global_store_dwordx2 v0, v[2:3], s[4:5]
.LBB7_33:
	s_endpgm
	.section	.rodata,"a",@progbits
	.p2align	6, 0x0
	.amdhsa_kernel _ZN9rocsolver6v33100L23getf2_npvt_panel_kernelI19rocblas_complex_numIfEllPS3_EEvT0_S5_T2_lS5_lPT1_S5_S5_
		.amdhsa_group_segment_fixed_size 0
		.amdhsa_private_segment_fixed_size 0
		.amdhsa_kernarg_size 328
		.amdhsa_user_sgpr_count 2
		.amdhsa_user_sgpr_dispatch_ptr 0
		.amdhsa_user_sgpr_queue_ptr 0
		.amdhsa_user_sgpr_kernarg_segment_ptr 1
		.amdhsa_user_sgpr_dispatch_id 0
		.amdhsa_user_sgpr_kernarg_preload_length 0
		.amdhsa_user_sgpr_kernarg_preload_offset 0
		.amdhsa_user_sgpr_private_segment_size 0
		.amdhsa_uses_dynamic_stack 0
		.amdhsa_enable_private_segment 0
		.amdhsa_system_sgpr_workgroup_id_x 1
		.amdhsa_system_sgpr_workgroup_id_y 0
		.amdhsa_system_sgpr_workgroup_id_z 1
		.amdhsa_system_sgpr_workgroup_info 0
		.amdhsa_system_vgpr_workitem_id 1
		.amdhsa_next_free_vgpr 34
		.amdhsa_next_free_sgpr 38
		.amdhsa_accum_offset 36
		.amdhsa_reserve_vcc 1
		.amdhsa_float_round_mode_32 0
		.amdhsa_float_round_mode_16_64 0
		.amdhsa_float_denorm_mode_32 3
		.amdhsa_float_denorm_mode_16_64 3
		.amdhsa_dx10_clamp 1
		.amdhsa_ieee_mode 1
		.amdhsa_fp16_overflow 0
		.amdhsa_tg_split 0
		.amdhsa_exception_fp_ieee_invalid_op 0
		.amdhsa_exception_fp_denorm_src 0
		.amdhsa_exception_fp_ieee_div_zero 0
		.amdhsa_exception_fp_ieee_overflow 0
		.amdhsa_exception_fp_ieee_underflow 0
		.amdhsa_exception_fp_ieee_inexact 0
		.amdhsa_exception_int_div_zero 0
	.end_amdhsa_kernel
	.section	.text._ZN9rocsolver6v33100L23getf2_npvt_panel_kernelI19rocblas_complex_numIfEllPS3_EEvT0_S5_T2_lS5_lPT1_S5_S5_,"axG",@progbits,_ZN9rocsolver6v33100L23getf2_npvt_panel_kernelI19rocblas_complex_numIfEllPS3_EEvT0_S5_T2_lS5_lPT1_S5_S5_,comdat
.Lfunc_end7:
	.size	_ZN9rocsolver6v33100L23getf2_npvt_panel_kernelI19rocblas_complex_numIfEllPS3_EEvT0_S5_T2_lS5_lPT1_S5_S5_, .Lfunc_end7-_ZN9rocsolver6v33100L23getf2_npvt_panel_kernelI19rocblas_complex_numIfEllPS3_EEvT0_S5_T2_lS5_lPT1_S5_S5_
                                        ; -- End function
	.set _ZN9rocsolver6v33100L23getf2_npvt_panel_kernelI19rocblas_complex_numIfEllPS3_EEvT0_S5_T2_lS5_lPT1_S5_S5_.num_vgpr, 34
	.set _ZN9rocsolver6v33100L23getf2_npvt_panel_kernelI19rocblas_complex_numIfEllPS3_EEvT0_S5_T2_lS5_lPT1_S5_S5_.num_agpr, 0
	.set _ZN9rocsolver6v33100L23getf2_npvt_panel_kernelI19rocblas_complex_numIfEllPS3_EEvT0_S5_T2_lS5_lPT1_S5_S5_.numbered_sgpr, 38
	.set _ZN9rocsolver6v33100L23getf2_npvt_panel_kernelI19rocblas_complex_numIfEllPS3_EEvT0_S5_T2_lS5_lPT1_S5_S5_.num_named_barrier, 0
	.set _ZN9rocsolver6v33100L23getf2_npvt_panel_kernelI19rocblas_complex_numIfEllPS3_EEvT0_S5_T2_lS5_lPT1_S5_S5_.private_seg_size, 0
	.set _ZN9rocsolver6v33100L23getf2_npvt_panel_kernelI19rocblas_complex_numIfEllPS3_EEvT0_S5_T2_lS5_lPT1_S5_S5_.uses_vcc, 1
	.set _ZN9rocsolver6v33100L23getf2_npvt_panel_kernelI19rocblas_complex_numIfEllPS3_EEvT0_S5_T2_lS5_lPT1_S5_S5_.uses_flat_scratch, 0
	.set _ZN9rocsolver6v33100L23getf2_npvt_panel_kernelI19rocblas_complex_numIfEllPS3_EEvT0_S5_T2_lS5_lPT1_S5_S5_.has_dyn_sized_stack, 0
	.set _ZN9rocsolver6v33100L23getf2_npvt_panel_kernelI19rocblas_complex_numIfEllPS3_EEvT0_S5_T2_lS5_lPT1_S5_S5_.has_recursion, 0
	.set _ZN9rocsolver6v33100L23getf2_npvt_panel_kernelI19rocblas_complex_numIfEllPS3_EEvT0_S5_T2_lS5_lPT1_S5_S5_.has_indirect_call, 0
	.section	.AMDGPU.csdata,"",@progbits
; Kernel info:
; codeLenInByte = 1584
; TotalNumSgprs: 44
; NumVgprs: 34
; NumAgprs: 0
; TotalNumVgprs: 34
; ScratchSize: 0
; MemoryBound: 0
; FloatMode: 240
; IeeeMode: 1
; LDSByteSize: 0 bytes/workgroup (compile time only)
; SGPRBlocks: 5
; VGPRBlocks: 4
; NumSGPRsForWavesPerEU: 44
; NumVGPRsForWavesPerEU: 34
; AccumOffset: 36
; Occupancy: 8
; WaveLimiterHint : 0
; COMPUTE_PGM_RSRC2:SCRATCH_EN: 0
; COMPUTE_PGM_RSRC2:USER_SGPR: 2
; COMPUTE_PGM_RSRC2:TRAP_HANDLER: 0
; COMPUTE_PGM_RSRC2:TGID_X_EN: 1
; COMPUTE_PGM_RSRC2:TGID_Y_EN: 0
; COMPUTE_PGM_RSRC2:TGID_Z_EN: 1
; COMPUTE_PGM_RSRC2:TIDIG_COMP_CNT: 1
; COMPUTE_PGM_RSRC3_GFX90A:ACCUM_OFFSET: 8
; COMPUTE_PGM_RSRC3_GFX90A:TG_SPLIT: 0
	.section	.text._ZN9rocsolver6v33100L18getf2_panel_kernelI19rocblas_complex_numIfEllPKPS3_EEvT0_S7_T2_lS7_lPS7_llPT1_S7_S7_S9_l,"axG",@progbits,_ZN9rocsolver6v33100L18getf2_panel_kernelI19rocblas_complex_numIfEllPKPS3_EEvT0_S7_T2_lS7_lPS7_llPT1_S7_S7_S9_l,comdat
	.globl	_ZN9rocsolver6v33100L18getf2_panel_kernelI19rocblas_complex_numIfEllPKPS3_EEvT0_S7_T2_lS7_lPS7_llPT1_S7_S7_S9_l ; -- Begin function _ZN9rocsolver6v33100L18getf2_panel_kernelI19rocblas_complex_numIfEllPKPS3_EEvT0_S7_T2_lS7_lPS7_llPT1_S7_S7_S9_l
	.p2align	8
	.type	_ZN9rocsolver6v33100L18getf2_panel_kernelI19rocblas_complex_numIfEllPKPS3_EEvT0_S7_T2_lS7_lPS7_llPT1_S7_S7_S9_l,@function
_ZN9rocsolver6v33100L18getf2_panel_kernelI19rocblas_complex_numIfEllPKPS3_EEvT0_S7_T2_lS7_lPS7_llPT1_S7_S7_S9_l: ; @_ZN9rocsolver6v33100L18getf2_panel_kernelI19rocblas_complex_numIfEllPKPS3_EEvT0_S7_T2_lS7_lPS7_llPT1_S7_S7_S9_l
; %bb.0:
	s_load_dwordx8 s[12:19], s[0:1], 0x0
	s_load_dwordx2 s[30:31], s[0:1], 0x20
	s_load_dwordx4 s[24:27], s[0:1], 0x58
	s_mov_b32 s2, s3
	s_mov_b32 s3, 0
	s_lshl_b64 s[28:29], s[2:3], 3
	s_waitcnt lgkmcnt(0)
	s_add_u32 s6, s16, s28
	s_addc_u32 s7, s17, s29
	s_load_dwordx2 s[4:5], s[0:1], 0x68
	s_load_dword s38, s[0:1], 0x7c
	s_load_dwordx2 s[10:11], s[6:7], 0x0
	s_cmp_eq_u64 s[26:27], 0
	s_cselect_b64 s[34:35], -1, 0
	s_mov_b64 s[36:37], 0
	s_and_b64 vcc, exec, s[34:35]
	s_cbranch_vccnz .LBB8_2
; %bb.1:
	s_waitcnt lgkmcnt(0)
	s_mul_i32 s3, s5, s2
	s_mul_hi_u32 s5, s4, s2
	s_add_i32 s5, s5, s3
	s_mul_i32 s4, s4, s2
	s_lshl_b64 s[4:5], s[4:5], 3
	s_add_u32 s36, s26, s4
	s_addc_u32 s37, s27, s5
.LBB8_2:
	s_waitcnt lgkmcnt(0)
	s_and_b32 s3, s38, 0xffff
	s_lshl_b64 s[40:41], s[18:19], 3
	s_add_u32 s6, s10, s40
	s_addc_u32 s7, s11, s41
	s_lshl_b32 s4, s3, 3
	s_add_i32 s33, s4, 8
	s_lshl_b32 s4, s14, 3
	v_bfe_u32 v12, v0, 10, 10
	s_add_i32 s52, s33, s4
	s_lshl_b32 s4, s3, 2
	v_and_b32_e32 v2, 0x3ff, v0
	v_mov_b32_e32 v3, 0
	s_add_i32 s44, s52, s4
	v_cmp_eq_u32_e64 s[8:9], 0, v12
                                        ; implicit-def: $vgpr22
	s_and_saveexec_b64 s[4:5], s[8:9]
	s_cbranch_execz .LBB8_6
; %bb.3:
	v_cmp_gt_i64_e32 vcc, s[12:13], v[2:3]
	v_mov_b32_e32 v0, v3
	v_mov_b32_e32 v1, v3
	s_and_saveexec_b64 s[16:17], vcc
	s_cbranch_execz .LBB8_5
; %bb.4:
	v_lshlrev_b32_e32 v0, 3, v2
	v_mov_b32_e32 v1, 0
	v_lshl_add_u64 v[0:1], s[6:7], 0, v[0:1]
	flat_load_dwordx2 v[0:1], v[0:1]
.LBB8_5:
	s_or_b64 exec, exec, s[16:17]
	v_lshlrev_b32_e32 v4, 3, v2
	v_add_u32_e32 v5, 8, v4
	s_waitcnt vmcnt(0) lgkmcnt(0)
	v_cmp_gt_f32_e32 vcc, 0, v1
	ds_write_b64 v5, v[0:1]
	s_nop 0
	v_cndmask_b32_e64 v1, v1, -v1, vcc
	v_cmp_gt_f32_e32 vcc, 0, v0
	s_nop 1
	v_cndmask_b32_e64 v0, v0, -v0, vcc
	v_add_f32_e32 v22, v0, v1
	v_lshl_add_u32 v0, v2, 2, s52
	ds_write_b32 v0, v22
	v_add_u32_e32 v0, s44, v4
	ds_write_b64 v0, v[2:3]
.LBB8_6:
	s_or_b64 exec, exec, s[4:5]
	s_load_dwordx8 s[16:23], s[0:1], 0x30
	v_cmp_lt_i64_e64 s[0:1], s[14:15], 1
	s_and_b64 vcc, exec, s[0:1]
	s_cbranch_vccnz .LBB8_54
; %bb.7:
	s_waitcnt lgkmcnt(0)
	s_mul_i32 s0, s21, s2
	s_mul_hi_u32 s1, s20, s2
	s_add_i32 s1, s1, s0
	s_mul_i32 s0, s20, s2
	s_lshr_b32 s26, s38, 16
	s_lshl_b64 s[0:1], s[0:1], 3
	s_add_u32 s2, s16, s0
	s_addc_u32 s4, s17, s1
	s_lshl_b64 s[0:1], s[18:19], 3
	s_add_u32 s53, s2, s0
	s_addc_u32 s54, s4, s1
	s_lshr_b32 s16, s3, 1
	v_or_b32_e32 v0, v2, v12
	v_mad_u64_u32 v[6:7], s[0:1], s30, v2, 0
	v_mov_b32_e32 v1, 0
	s_cmp_gt_u32 s3, 1
	v_cmp_eq_u32_e64 s[2:3], 0, v0
	v_mov_b32_e32 v0, v7
	v_mad_u64_u32 v[8:9], s[0:1], s31, v2, v[0:1]
	v_add_u32_e32 v0, 2, v12
	v_mad_u64_u32 v[14:15], s[0:1], s30, v0, 0
	v_mov_b32_e32 v16, v15
	s_cselect_b64 s[18:19], -1, 0
	s_add_u32 s55, s24, 1
	v_cmp_gt_u64_e32 vcc, s[14:15], v[2:3]
	v_mad_u64_u32 v[16:17], s[0:1], s31, v0, v[16:17]
	s_addc_u32 s56, s25, 0
	s_and_b64 s[20:21], s[8:9], vcc
	v_mov_b32_e32 v15, v16
	v_lshlrev_b32_e32 v10, 3, v2
	v_mov_b32_e32 v11, v1
	s_add_u32 s38, s14, -1
	v_lshl_add_u64 v[14:15], v[14:15], 3, s[40:41]
	s_mul_i32 s0, s31, s26
	s_mul_hi_u32 s1, s30, s26
	s_mov_b32 s27, 0
	v_lshl_add_u64 v[4:5], s[6:7], 0, v[10:11]
	v_add_u32_e32 v24, s44, v10
	v_add_u32_e32 v25, 8, v10
	v_mov_b32_e32 v7, v8
	v_add_u32_e32 v26, s33, v10
	s_addc_u32 s39, s15, -1
	v_lshl_add_u64 v[8:9], s[36:37], 0, v[10:11]
	v_lshl_add_u64 v[10:11], v[14:15], 0, v[10:11]
	s_add_i32 s1, s1, s0
	s_mul_i32 s0, s30, s26
	v_lshlrev_b32_e32 v12, 3, v12
	s_mov_b32 s17, s27
	v_lshl_add_u32 v23, v2, 2, s52
	v_cmp_gt_i64_e64 s[4:5], s[12:13], v[2:3]
	v_lshl_add_u64 v[6:7], v[6:7], 3, s[6:7]
	v_cmp_le_i64_e64 s[6:7], s[12:13], v[2:3]
	v_lshl_add_u64 v[10:11], s[10:11], 0, v[10:11]
	s_lshl_b64 s[40:41], s[30:31], 3
	s_lshl_b64 s[42:43], s[0:1], 3
	v_add3_u32 v27, s33, v12, 16
	s_lshl_b32 s57, s26, 3
	s_mov_b64 s[12:13], 0
	v_mov_b32_e32 v28, s44
	v_mov_b32_e32 v30, v1
	v_mov_b32_e32 v31, v1
	s_mov_b64 s[44:45], 0
	s_branch .LBB8_9
.LBB8_8:                                ;   in Loop: Header=BB8_9 Depth=1
	s_or_b64 exec, exec, s[0:1]
	s_add_u32 s44, s44, 1
	s_addc_u32 s45, s45, 0
	v_lshl_add_u64 v[10:11], v[10:11], 0, s[40:41]
	s_cmp_eq_u64 s[44:45], s[14:15]
	v_add_u32_e32 v27, 8, v27
	s_cbranch_scc1 .LBB8_55
.LBB8_9:                                ; =>This Loop Header: Depth=1
                                        ;     Child Loop BB8_16 Depth 2
                                        ;     Child Loop BB8_48 Depth 2
	s_andn2_b64 vcc, exec, s[18:19]
	s_mov_b64 s[10:11], s[16:17]
	v_mov_b64_e32 v[12:13], v[2:3]
	s_barrier
	s_cbranch_vccnz .LBB8_18
; %bb.10:                               ;   in Loop: Header=BB8_9 Depth=1
	v_cmp_gt_u64_e32 vcc, s[10:11], v[2:3]
	s_and_b64 s[0:1], s[8:9], vcc
	s_and_saveexec_b64 s[46:47], s[0:1]
	s_cbranch_execz .LBB8_16
.LBB8_11:                               ;   in Loop: Header=BB8_9 Depth=1
	v_lshl_add_u32 v14, s10, 2, v23
	ds_read_b32 v16, v14
	v_lshl_add_u32 v14, s10, 3, v24
	ds_read_b64 v[14:15], v14
	s_waitcnt lgkmcnt(0)
	v_cmp_lt_f32_e64 s[48:49], v22, v16
	v_cmp_nlt_f32_e32 vcc, v22, v16
	s_and_saveexec_b64 s[50:51], vcc
	s_cbranch_execz .LBB8_13
; %bb.12:                               ;   in Loop: Header=BB8_9 Depth=1
	v_cmp_eq_f32_e32 vcc, v22, v16
	s_waitcnt lgkmcnt(0)
	v_cmp_gt_i64_e64 s[0:1], v[12:13], v[14:15]
	s_and_b64 s[0:1], vcc, s[0:1]
	s_andn2_b64 s[48:49], s[48:49], exec
	s_and_b64 s[0:1], s[0:1], exec
	s_or_b64 s[48:49], s[48:49], s[0:1]
.LBB8_13:                               ;   in Loop: Header=BB8_9 Depth=1
	s_or_b64 exec, exec, s[50:51]
	s_and_saveexec_b64 s[0:1], s[48:49]
	s_cbranch_execz .LBB8_15
; %bb.14:                               ;   in Loop: Header=BB8_9 Depth=1
	v_mov_b32_e32 v22, v16
	s_waitcnt lgkmcnt(0)
	v_mov_b64_e32 v[12:13], v[14:15]
	ds_write_b32 v23, v16
	ds_write_b64 v24, v[14:15]
.LBB8_15:                               ;   in Loop: Header=BB8_9 Depth=1
	s_or_b64 exec, exec, s[0:1]
.LBB8_16:                               ;   Parent Loop BB8_9 Depth=1
                                        ; =>  This Inner Loop Header: Depth=2
	s_or_b64 exec, exec, s[46:47]
	s_lshr_b64 s[0:1], s[10:11], 1
	v_cmp_lt_u64_e64 s[10:11], s[10:11], 2
	s_and_b64 vcc, exec, s[10:11]
	s_waitcnt lgkmcnt(0)
	s_barrier
	s_cbranch_vccnz .LBB8_18
; %bb.17:                               ;   in Loop: Header=BB8_16 Depth=2
	s_mov_b64 s[10:11], s[0:1]
	v_cmp_gt_u64_e32 vcc, s[10:11], v[2:3]
	s_and_b64 s[0:1], s[8:9], vcc
	s_and_saveexec_b64 s[46:47], s[0:1]
	s_cbranch_execnz .LBB8_11
	s_branch .LBB8_16
.LBB8_18:                               ;   in Loop: Header=BB8_9 Depth=1
	ds_read_b64 v[14:15], v28
	s_waitcnt lgkmcnt(0)
	v_lshlrev_b32_e32 v12, 3, v14
	v_add_u32_e32 v12, 8, v12
	ds_read_b64 v[12:13], v12
	v_readfirstlane_b32 s46, v14
	v_readfirstlane_b32 s47, v15
	s_waitcnt lgkmcnt(0)
	v_cmp_eq_f32_e32 vcc, 0, v12
	v_cmp_eq_f32_e64 s[0:1], 0, v13
	s_and_b64 s[0:1], vcc, s[0:1]
	s_andn2_b64 vcc, exec, s[0:1]
	s_cbranch_vccz .LBB8_21
; %bb.19:                               ;   in Loop: Header=BB8_9 Depth=1
	v_cmp_ngt_f32_e64 s[0:1], |v12|, |v13|
	s_and_b64 vcc, exec, s[0:1]
	s_cbranch_vccz .LBB8_23
; %bb.20:                               ;   in Loop: Header=BB8_9 Depth=1
	v_div_scale_f32 v14, s[0:1], v13, v13, v12
	v_rcp_f32_e32 v15, v14
	v_div_scale_f32 v16, vcc, v12, v13, v12
	v_fma_f32 v17, -v14, v15, 1.0
	v_fmac_f32_e32 v15, v17, v15
	v_mul_f32_e32 v17, v16, v15
	v_fma_f32 v18, -v14, v17, v16
	v_fmac_f32_e32 v17, v18, v15
	v_fma_f32 v14, -v14, v17, v16
	v_div_fmas_f32 v14, v14, v15, v17
	v_div_fixup_f32 v14, v14, v13, v12
	v_fma_f32 v15, v12, v14, v13
	v_div_scale_f32 v16, s[0:1], v15, v15, 1.0
	v_rcp_f32_e32 v17, v16
	s_nop 0
	v_fma_f32 v18, -v16, v17, 1.0
	v_fmac_f32_e32 v17, v18, v17
	v_div_scale_f32 v18, vcc, 1.0, v15, 1.0
	v_mul_f32_e32 v19, v18, v17
	v_fma_f32 v20, -v16, v19, v18
	v_fmac_f32_e32 v19, v20, v17
	v_fma_f32 v16, -v16, v19, v18
	v_div_fmas_f32 v16, v16, v17, v19
	v_div_fixup_f32 v15, v16, v15, 1.0
	v_mul_f32_e32 v14, v14, v15
	v_xor_b32_e32 v15, 0x80000000, v15
	s_cbranch_execz .LBB8_24
	s_branch .LBB8_25
.LBB8_21:                               ;   in Loop: Header=BB8_9 Depth=1
                                        ; implicit-def: $vgpr15
	s_branch .LBB8_26
.LBB8_22:                               ;   in Loop: Header=BB8_9 Depth=1
	v_mov_b32_e32 v12, v14
	v_mov_b32_e32 v13, v15
	s_and_saveexec_b64 s[0:1], s[2:3]
	s_cbranch_execnz .LBB8_27
	s_branch .LBB8_28
.LBB8_23:                               ;   in Loop: Header=BB8_9 Depth=1
                                        ; implicit-def: $vgpr15
.LBB8_24:                               ;   in Loop: Header=BB8_9 Depth=1
	v_div_scale_f32 v14, s[0:1], v12, v12, v13
	v_rcp_f32_e32 v15, v14
	v_div_scale_f32 v16, vcc, v13, v12, v13
	v_fma_f32 v17, -v14, v15, 1.0
	v_fmac_f32_e32 v15, v17, v15
	v_mul_f32_e32 v17, v16, v15
	v_fma_f32 v18, -v14, v17, v16
	v_fmac_f32_e32 v17, v18, v15
	v_fma_f32 v14, -v14, v17, v16
	v_div_fmas_f32 v14, v14, v15, v17
	v_div_fixup_f32 v15, v14, v12, v13
	v_fma_f32 v14, v13, v15, v12
	v_div_scale_f32 v16, s[0:1], v14, v14, 1.0
	v_rcp_f32_e32 v17, v16
	s_nop 0
	v_fma_f32 v18, -v16, v17, 1.0
	v_fmac_f32_e32 v17, v18, v17
	v_div_scale_f32 v18, vcc, 1.0, v14, 1.0
	v_mul_f32_e32 v19, v18, v17
	v_fma_f32 v20, -v16, v19, v18
	v_fmac_f32_e32 v19, v20, v17
	v_fma_f32 v16, -v16, v19, v18
	v_div_fmas_f32 v16, v16, v17, v19
	v_div_fixup_f32 v14, v16, v14, 1.0
	v_mul_f32_e64 v15, v15, -v14
.LBB8_25:                               ;   in Loop: Header=BB8_9 Depth=1
	s_cbranch_execnz .LBB8_22
.LBB8_26:                               ;   in Loop: Header=BB8_9 Depth=1
	s_add_u32 s0, s44, 1
	s_addc_u32 s1, s45, 0
	s_cmp_eq_u64 s[12:13], 0
	s_cselect_b32 s13, s1, s13
	s_cselect_b32 s12, s0, s12
	v_mov_b64_e32 v[14:15], v[12:13]
	s_mov_b64 s[46:47], s[44:45]
	s_and_saveexec_b64 s[0:1], s[2:3]
	s_cbranch_execz .LBB8_28
.LBB8_27:                               ;   in Loop: Header=BB8_9 Depth=1
	s_lshl_b64 s[10:11], s[44:45], 3
	s_add_u32 s10, s53, s10
	s_addc_u32 s11, s54, s11
	s_add_u32 s48, s55, s46
	s_addc_u32 s49, s56, s47
	v_mov_b64_e32 v[16:17], s[48:49]
	global_store_dwordx2 v1, v[16:17], s[10:11]
.LBB8_28:                               ;   in Loop: Header=BB8_9 Depth=1
	s_or_b64 exec, exec, s[0:1]
	v_cmp_eq_u64_e32 vcc, s[46:47], v[2:3]
	v_cmp_ne_u64_e64 s[0:1], s[46:47], v[2:3]
	s_and_saveexec_b64 s[10:11], s[0:1]
	s_cbranch_execz .LBB8_32
; %bb.29:                               ;   in Loop: Header=BB8_9 Depth=1
	ds_read_b64 v[16:17], v25
	v_cmp_le_u64_e64 s[0:1], s[44:45], v[2:3]
	s_and_b64 s[0:1], s[4:5], s[0:1]
	s_and_b64 s[48:49], s[8:9], s[0:1]
	s_waitcnt lgkmcnt(0)
	v_pk_mul_f32 v[18:19], v[14:15], v[16:17] op_sel:[1,1] op_sel_hi:[1,0]
	s_nop 0
	v_pk_fma_f32 v[12:13], v[14:15], v[16:17], v[18:19] op_sel_hi:[0,1,1] neg_lo:[0,0,1] neg_hi:[0,0,1]
	v_pk_fma_f32 v[14:15], v[14:15], v[16:17], v[18:19] op_sel_hi:[0,1,1]
	s_and_saveexec_b64 s[0:1], s[48:49]
	s_cbranch_execz .LBB8_31
; %bb.30:                               ;   in Loop: Header=BB8_9 Depth=1
	s_mul_i32 s48, s44, s31
	s_mul_hi_u32 s49, s44, s30
	s_add_i32 s48, s49, s48
	s_mul_i32 s49, s45, s30
	s_add_i32 s49, s48, s49
	s_mul_i32 s48, s44, s30
	v_mov_b32_e32 v13, v15
	v_lshl_add_u64 v[16:17], s[48:49], 3, v[4:5]
	flat_store_dwordx2 v[16:17], v[12:13]
.LBB8_31:                               ;   in Loop: Header=BB8_9 Depth=1
	s_or_b64 exec, exec, s[0:1]
	v_mov_b32_e32 v13, v15
.LBB8_32:                               ;   in Loop: Header=BB8_9 Depth=1
	s_or_b64 exec, exec, s[10:11]
	v_lshl_add_u64 v[14:15], s[46:47], 3, v[6:7]
	s_and_saveexec_b64 s[10:11], s[20:21]
	s_cbranch_execz .LBB8_35
; %bb.33:                               ;   in Loop: Header=BB8_9 Depth=1
	flat_load_dwordx2 v[16:17], v[14:15]
	v_cmp_eq_u64_e64 s[0:1], s[44:45], v[2:3]
	s_waitcnt vmcnt(0) lgkmcnt(0)
	ds_write_b64 v26, v[16:17]
	s_and_b64 exec, exec, s[0:1]
; %bb.34:                               ;   in Loop: Header=BB8_9 Depth=1
	ds_write_b64 v1, v[12:13]
.LBB8_35:                               ;   in Loop: Header=BB8_9 Depth=1
	s_or_b64 exec, exec, s[10:11]
	s_cmp_lg_u64 s[46:47], s[44:45]
	s_cselect_b64 s[0:1], -1, 0
	s_and_b64 s[0:1], s[20:21], s[0:1]
	s_waitcnt lgkmcnt(0)
	s_barrier
	s_and_saveexec_b64 s[48:49], s[0:1]
	s_cbranch_execz .LBB8_43
; %bb.36:                               ;   in Loop: Header=BB8_9 Depth=1
	s_mov_b64 s[0:1], src_shared_base
	v_lshl_add_u64 v[16:17], s[44:45], 3, v[6:7]
	v_mov_b32_e32 v18, s1
	v_cmp_ne_u64_e64 s[0:1], s[44:45], v[2:3]
	v_mov_b32_e32 v20, 0
	v_cmp_lt_u64_e64 s[10:11], s[44:45], v[2:3]
	v_cndmask_b32_e64 v19, v18, v17, s[0:1]
	v_cndmask_b32_e64 v18, 0, v16, s[0:1]
	flat_load_dwordx2 v[18:19], v[18:19]
	v_mov_b32_e32 v21, v20
	s_and_saveexec_b64 s[50:51], s[10:11]
	s_cbranch_execz .LBB8_38
; %bb.37:                               ;   in Loop: Header=BB8_9 Depth=1
	ds_read_b64 v[20:21], v1
	ds_read_b64 v[32:33], v26
	s_waitcnt lgkmcnt(0)
	v_pk_mul_f32 v[34:35], v[32:33], v[20:21] op_sel:[1,1] op_sel_hi:[0,1]
	v_pk_mul_f32 v[36:37], v[32:33], v[20:21] op_sel_hi:[1,0]
	v_pk_fma_f32 v[20:21], v[32:33], v[20:21], v[34:35] op_sel_hi:[1,0,1]
	s_nop 0
	v_sub_f32_e32 v20, v36, v34
.LBB8_38:                               ;   in Loop: Header=BB8_9 Depth=1
	s_or_b64 exec, exec, s[50:51]
	s_waitcnt vmcnt(0) lgkmcnt(0)
	v_pk_add_f32 v[18:19], v[18:19], v[20:21] neg_lo:[0,1] neg_hi:[0,1]
	flat_store_dwordx2 v[14:15], v[18:19]
	ds_read_b64 v[14:15], v26
	s_add_u32 s10, s44, 1
	s_addc_u32 s11, s45, 0
	v_cmp_eq_u64_e64 s[10:11], s[10:11], v[2:3]
	s_waitcnt lgkmcnt(0)
	flat_store_dwordx2 v[16:17], v[14:15]
	s_and_saveexec_b64 s[50:51], s[10:11]
	s_cbranch_execz .LBB8_40
; %bb.39:                               ;   in Loop: Header=BB8_9 Depth=1
	s_lshl_b32 s10, s46, 3
	s_add_i32 s10, s10, 8
	v_mov_b32_e32 v14, s10
	v_cmp_gt_f32_e64 s[10:11], 0, v18
	ds_write_b64 v14, v[18:19]
	s_nop 0
	v_cndmask_b32_e64 v14, v18, -v18, s[10:11]
	v_cmp_gt_f32_e64 s[10:11], 0, v19
	s_nop 1
	v_cndmask_b32_e64 v15, v19, -v19, s[10:11]
	s_lshl_b32 s10, s46, 2
	s_add_i32 s10, s52, s10
	v_add_f32_e32 v22, v15, v14
	v_mov_b32_e32 v14, s10
	ds_write_b32 v14, v22
.LBB8_40:                               ;   in Loop: Header=BB8_9 Depth=1
	s_or_b64 exec, exec, s[50:51]
	s_nor_b64 s[10:11], s[34:35], s[0:1]
	s_and_saveexec_b64 s[0:1], s[10:11]
	s_cbranch_execz .LBB8_42
; %bb.41:                               ;   in Loop: Header=BB8_9 Depth=1
	s_lshl_b64 s[10:11], s[46:47], 3
	s_add_u32 s10, s36, s10
	s_addc_u32 s11, s37, s11
	global_load_dwordx2 v[14:15], v1, s[10:11]
	global_load_dwordx2 v[16:17], v[8:9], off
	s_waitcnt vmcnt(0)
	global_store_dwordx2 v[8:9], v[14:15], off
	global_store_dwordx2 v1, v[16:17], s[10:11]
.LBB8_42:                               ;   in Loop: Header=BB8_9 Depth=1
	s_or_b64 exec, exec, s[0:1]
.LBB8_43:                               ;   in Loop: Header=BB8_9 Depth=1
	s_or_b64 exec, exec, s[48:49]
	v_cmp_ge_u64_e64 s[0:1], s[44:45], v[2:3]
	s_or_b64 s[10:11], s[6:7], s[0:1]
	s_nor_b64 s[46:47], s[10:11], vcc
	s_and_saveexec_b64 s[10:11], s[46:47]
	s_cbranch_execnz .LBB8_46
; %bb.44:                               ;   in Loop: Header=BB8_9 Depth=1
	s_or_b64 exec, exec, s[10:11]
	s_and_b64 s[10:11], s[8:9], s[0:1]
	s_and_saveexec_b64 s[0:1], s[10:11]
	s_cbranch_execnz .LBB8_52
.LBB8_45:                               ;   in Loop: Header=BB8_9 Depth=1
	s_or_b64 exec, exec, s[0:1]
	s_and_saveexec_b64 s[0:1], s[8:9]
	s_cbranch_execz .LBB8_8
	s_branch .LBB8_53
.LBB8_46:                               ;   in Loop: Header=BB8_9 Depth=1
	v_lshl_add_u64 v[14:15], s[44:45], 0, v[0:1]
	v_cmp_gt_i64_e32 vcc, s[14:15], v[14:15]
	s_and_saveexec_b64 s[46:47], vcc
	s_cbranch_execz .LBB8_49
; %bb.47:                               ;   in Loop: Header=BB8_9 Depth=1
	v_mov_b32_e32 v16, v13
	v_mov_b32_e32 v17, v13
	v_mov_b32_e32 v18, v12
	v_mov_b32_e32 v19, v12
	s_mov_b64 s[48:49], 0
	v_mov_b32_e32 v29, v27
	v_mov_b64_e32 v[20:21], v[10:11]
.LBB8_48:                               ;   Parent Loop BB8_9 Depth=1
                                        ; =>  This Inner Loop Header: Depth=2
	flat_load_dwordx2 v[32:33], v[20:21]
	ds_read_b64 v[34:35], v29
	v_lshl_add_u64 v[14:15], v[14:15], 0, s[26:27]
	v_cmp_le_i64_e32 vcc, s[14:15], v[14:15]
	s_or_b64 s[48:49], vcc, s[48:49]
	v_add_u32_e32 v29, s57, v29
	s_waitcnt lgkmcnt(0)
	v_pk_mul_f32 v[36:37], v[16:17], v[34:35] op_sel:[0,1] op_sel_hi:[1,0]
	s_nop 0
	v_pk_fma_f32 v[38:39], v[18:19], v[34:35], v[36:37] neg_lo:[0,0,1] neg_hi:[0,0,1]
	v_pk_fma_f32 v[34:35], v[18:19], v[34:35], v[36:37]
	s_nop 0
	v_mov_b32_e32 v39, v35
	s_waitcnt vmcnt(0)
	v_pk_add_f32 v[32:33], v[32:33], v[38:39] neg_lo:[0,1] neg_hi:[0,1]
	flat_store_dwordx2 v[20:21], v[32:33]
	v_lshl_add_u64 v[20:21], v[20:21], 0, s[42:43]
	s_andn2_b64 exec, exec, s[48:49]
	s_cbranch_execnz .LBB8_48
.LBB8_49:                               ;   in Loop: Header=BB8_9 Depth=1
	s_or_b64 exec, exec, s[46:47]
	v_mov_b64_e32 v[14:15], s[38:39]
	v_cmp_lt_i64_e32 vcc, s[44:45], v[14:15]
	s_and_b64 s[48:49], s[8:9], vcc
	s_and_saveexec_b64 s[46:47], s[48:49]
	s_cbranch_execz .LBB8_51
; %bb.50:                               ;   in Loop: Header=BB8_9 Depth=1
	s_add_u32 s48, s44, 1
	s_addc_u32 s49, s45, 0
	s_mul_i32 s50, s48, s31
	s_mul_hi_u32 s51, s48, s30
	s_add_i32 s50, s51, s50
	s_mul_i32 s49, s49, s30
	s_add_i32 s49, s50, s49
	s_mul_i32 s48, s48, s30
	v_lshl_add_u64 v[14:15], s[48:49], 3, v[4:5]
	flat_load_dwordx2 v[16:17], v[14:15]
	s_lshl_b32 s48, s44, 3
	s_add_i32 s48, s33, s48
	v_mov_b32_e32 v18, s48
	ds_read_b64 v[18:19], v18 offset:8
	s_waitcnt lgkmcnt(0)
	v_pk_mul_f32 v[20:21], v[12:13], v[18:19] op_sel:[1,1] op_sel_hi:[1,0]
	s_nop 0
	v_pk_fma_f32 v[32:33], v[12:13], v[18:19], v[20:21] neg_lo:[0,0,1] neg_hi:[0,0,1]
	v_pk_fma_f32 v[12:13], v[12:13], v[18:19], v[20:21] op_sel_hi:[0,1,1]
	v_mov_b32_e32 v33, v13
	s_waitcnt vmcnt(0)
	v_pk_add_f32 v[12:13], v[16:17], v[32:33] neg_lo:[0,1] neg_hi:[0,1]
	s_nop 0
	v_cmp_gt_f32_e32 vcc, 0, v13
	flat_store_dwordx2 v[14:15], v[12:13]
	ds_write_b64 v25, v[12:13]
	v_cndmask_b32_e64 v13, v13, -v13, vcc
	v_cmp_gt_f32_e32 vcc, 0, v12
	s_nop 1
	v_cndmask_b32_e64 v12, v12, -v12, vcc
	v_add_f32_e32 v22, v12, v13
	ds_write_b32 v23, v22
.LBB8_51:                               ;   in Loop: Header=BB8_9 Depth=1
	s_or_b64 exec, exec, s[46:47]
	s_or_b64 exec, exec, s[10:11]
	s_and_b64 s[10:11], s[8:9], s[0:1]
	s_and_saveexec_b64 s[0:1], s[10:11]
	s_cbranch_execz .LBB8_45
.LBB8_52:                               ;   in Loop: Header=BB8_9 Depth=1
	v_mov_b32_e32 v22, 0
	ds_write_b64 v25, v[30:31]
	ds_write_b32 v23, v1
	s_or_b64 exec, exec, s[0:1]
	s_and_saveexec_b64 s[0:1], s[8:9]
	s_cbranch_execz .LBB8_8
.LBB8_53:                               ;   in Loop: Header=BB8_9 Depth=1
	ds_write_b64 v24, v[2:3]
	s_branch .LBB8_8
.LBB8_54:
	s_mov_b64 s[12:13], 0
.LBB8_55:
	v_cmp_eq_u32_e32 vcc, 0, v2
	s_and_saveexec_b64 s[0:1], vcc
	s_cbranch_execz .LBB8_58
; %bb.56:
	s_waitcnt lgkmcnt(0)
	s_add_u32 s0, s22, s28
	s_addc_u32 s1, s23, s29
	v_mov_b32_e32 v0, 0
	global_load_dwordx2 v[2:3], v0, s[0:1]
	v_cmp_gt_i64_e64 s[4:5], s[12:13], 0
	s_waitcnt vmcnt(0)
	v_readfirstlane_b32 s2, v2
	v_readfirstlane_b32 s3, v3
	s_cmp_eq_u64 s[2:3], 0
	s_cselect_b64 s[2:3], -1, 0
	s_and_b64 s[2:3], s[2:3], s[4:5]
	s_and_b64 s[2:3], s[8:9], s[2:3]
	s_and_b64 exec, exec, s[2:3]
	s_cbranch_execz .LBB8_58
; %bb.57:
	s_add_u32 s2, s12, s24
	s_addc_u32 s3, s13, s25
	v_mov_b64_e32 v[2:3], s[2:3]
	global_store_dwordx2 v0, v[2:3], s[0:1]
.LBB8_58:
	s_endpgm
	.section	.rodata,"a",@progbits
	.p2align	6, 0x0
	.amdhsa_kernel _ZN9rocsolver6v33100L18getf2_panel_kernelI19rocblas_complex_numIfEllPKPS3_EEvT0_S7_T2_lS7_lPS7_llPT1_S7_S7_S9_l
		.amdhsa_group_segment_fixed_size 8
		.amdhsa_private_segment_fixed_size 0
		.amdhsa_kernarg_size 368
		.amdhsa_user_sgpr_count 2
		.amdhsa_user_sgpr_dispatch_ptr 0
		.amdhsa_user_sgpr_queue_ptr 0
		.amdhsa_user_sgpr_kernarg_segment_ptr 1
		.amdhsa_user_sgpr_dispatch_id 0
		.amdhsa_user_sgpr_kernarg_preload_length 0
		.amdhsa_user_sgpr_kernarg_preload_offset 0
		.amdhsa_user_sgpr_private_segment_size 0
		.amdhsa_uses_dynamic_stack 0
		.amdhsa_enable_private_segment 0
		.amdhsa_system_sgpr_workgroup_id_x 1
		.amdhsa_system_sgpr_workgroup_id_y 0
		.amdhsa_system_sgpr_workgroup_id_z 1
		.amdhsa_system_sgpr_workgroup_info 0
		.amdhsa_system_vgpr_workitem_id 1
		.amdhsa_next_free_vgpr 40
		.amdhsa_next_free_sgpr 58
		.amdhsa_accum_offset 40
		.amdhsa_reserve_vcc 1
		.amdhsa_float_round_mode_32 0
		.amdhsa_float_round_mode_16_64 0
		.amdhsa_float_denorm_mode_32 3
		.amdhsa_float_denorm_mode_16_64 3
		.amdhsa_dx10_clamp 1
		.amdhsa_ieee_mode 1
		.amdhsa_fp16_overflow 0
		.amdhsa_tg_split 0
		.amdhsa_exception_fp_ieee_invalid_op 0
		.amdhsa_exception_fp_denorm_src 0
		.amdhsa_exception_fp_ieee_div_zero 0
		.amdhsa_exception_fp_ieee_overflow 0
		.amdhsa_exception_fp_ieee_underflow 0
		.amdhsa_exception_fp_ieee_inexact 0
		.amdhsa_exception_int_div_zero 0
	.end_amdhsa_kernel
	.section	.text._ZN9rocsolver6v33100L18getf2_panel_kernelI19rocblas_complex_numIfEllPKPS3_EEvT0_S7_T2_lS7_lPS7_llPT1_S7_S7_S9_l,"axG",@progbits,_ZN9rocsolver6v33100L18getf2_panel_kernelI19rocblas_complex_numIfEllPKPS3_EEvT0_S7_T2_lS7_lPS7_llPT1_S7_S7_S9_l,comdat
.Lfunc_end8:
	.size	_ZN9rocsolver6v33100L18getf2_panel_kernelI19rocblas_complex_numIfEllPKPS3_EEvT0_S7_T2_lS7_lPS7_llPT1_S7_S7_S9_l, .Lfunc_end8-_ZN9rocsolver6v33100L18getf2_panel_kernelI19rocblas_complex_numIfEllPKPS3_EEvT0_S7_T2_lS7_lPS7_llPT1_S7_S7_S9_l
                                        ; -- End function
	.set _ZN9rocsolver6v33100L18getf2_panel_kernelI19rocblas_complex_numIfEllPKPS3_EEvT0_S7_T2_lS7_lPS7_llPT1_S7_S7_S9_l.num_vgpr, 40
	.set _ZN9rocsolver6v33100L18getf2_panel_kernelI19rocblas_complex_numIfEllPKPS3_EEvT0_S7_T2_lS7_lPS7_llPT1_S7_S7_S9_l.num_agpr, 0
	.set _ZN9rocsolver6v33100L18getf2_panel_kernelI19rocblas_complex_numIfEllPKPS3_EEvT0_S7_T2_lS7_lPS7_llPT1_S7_S7_S9_l.numbered_sgpr, 58
	.set _ZN9rocsolver6v33100L18getf2_panel_kernelI19rocblas_complex_numIfEllPKPS3_EEvT0_S7_T2_lS7_lPS7_llPT1_S7_S7_S9_l.num_named_barrier, 0
	.set _ZN9rocsolver6v33100L18getf2_panel_kernelI19rocblas_complex_numIfEllPKPS3_EEvT0_S7_T2_lS7_lPS7_llPT1_S7_S7_S9_l.private_seg_size, 0
	.set _ZN9rocsolver6v33100L18getf2_panel_kernelI19rocblas_complex_numIfEllPKPS3_EEvT0_S7_T2_lS7_lPS7_llPT1_S7_S7_S9_l.uses_vcc, 1
	.set _ZN9rocsolver6v33100L18getf2_panel_kernelI19rocblas_complex_numIfEllPKPS3_EEvT0_S7_T2_lS7_lPS7_llPT1_S7_S7_S9_l.uses_flat_scratch, 0
	.set _ZN9rocsolver6v33100L18getf2_panel_kernelI19rocblas_complex_numIfEllPKPS3_EEvT0_S7_T2_lS7_lPS7_llPT1_S7_S7_S9_l.has_dyn_sized_stack, 0
	.set _ZN9rocsolver6v33100L18getf2_panel_kernelI19rocblas_complex_numIfEllPKPS3_EEvT0_S7_T2_lS7_lPS7_llPT1_S7_S7_S9_l.has_recursion, 0
	.set _ZN9rocsolver6v33100L18getf2_panel_kernelI19rocblas_complex_numIfEllPKPS3_EEvT0_S7_T2_lS7_lPS7_llPT1_S7_S7_S9_l.has_indirect_call, 0
	.section	.AMDGPU.csdata,"",@progbits
; Kernel info:
; codeLenInByte = 2624
; TotalNumSgprs: 64
; NumVgprs: 40
; NumAgprs: 0
; TotalNumVgprs: 40
; ScratchSize: 0
; MemoryBound: 1
; FloatMode: 240
; IeeeMode: 1
; LDSByteSize: 8 bytes/workgroup (compile time only)
; SGPRBlocks: 7
; VGPRBlocks: 4
; NumSGPRsForWavesPerEU: 64
; NumVGPRsForWavesPerEU: 40
; AccumOffset: 40
; Occupancy: 8
; WaveLimiterHint : 1
; COMPUTE_PGM_RSRC2:SCRATCH_EN: 0
; COMPUTE_PGM_RSRC2:USER_SGPR: 2
; COMPUTE_PGM_RSRC2:TRAP_HANDLER: 0
; COMPUTE_PGM_RSRC2:TGID_X_EN: 1
; COMPUTE_PGM_RSRC2:TGID_Y_EN: 0
; COMPUTE_PGM_RSRC2:TGID_Z_EN: 1
; COMPUTE_PGM_RSRC2:TIDIG_COMP_CNT: 1
; COMPUTE_PGM_RSRC3_GFX90A:ACCUM_OFFSET: 9
; COMPUTE_PGM_RSRC3_GFX90A:TG_SPLIT: 0
	.section	.text._ZN9rocsolver6v33100L23getf2_npvt_panel_kernelI19rocblas_complex_numIfEllPKPS3_EEvT0_S7_T2_lS7_lPT1_S7_S7_,"axG",@progbits,_ZN9rocsolver6v33100L23getf2_npvt_panel_kernelI19rocblas_complex_numIfEllPKPS3_EEvT0_S7_T2_lS7_lPT1_S7_S7_,comdat
	.globl	_ZN9rocsolver6v33100L23getf2_npvt_panel_kernelI19rocblas_complex_numIfEllPKPS3_EEvT0_S7_T2_lS7_lPT1_S7_S7_ ; -- Begin function _ZN9rocsolver6v33100L23getf2_npvt_panel_kernelI19rocblas_complex_numIfEllPKPS3_EEvT0_S7_T2_lS7_lPT1_S7_S7_
	.p2align	8
	.type	_ZN9rocsolver6v33100L23getf2_npvt_panel_kernelI19rocblas_complex_numIfEllPKPS3_EEvT0_S7_T2_lS7_lPT1_S7_S7_,@function
_ZN9rocsolver6v33100L23getf2_npvt_panel_kernelI19rocblas_complex_numIfEllPKPS3_EEvT0_S7_T2_lS7_lPT1_S7_S7_: ; @_ZN9rocsolver6v33100L23getf2_npvt_panel_kernelI19rocblas_complex_numIfEllPKPS3_EEvT0_S7_T2_lS7_lPT1_S7_S7_
; %bb.0:
	s_load_dwordx8 s[8:15], s[0:1], 0x0
	s_mov_b32 s2, s3
	s_mov_b32 s3, 0
	s_lshl_b64 s[16:17], s[2:3], 3
	v_mov_b32_e32 v4, 0
	s_waitcnt lgkmcnt(0)
	s_add_u32 s2, s12, s16
	s_addc_u32 s3, s13, s17
	s_load_dwordx2 s[6:7], s[2:3], 0x0
	s_load_dwordx2 s[12:13], s[0:1], 0x20
	s_load_dword s18, s[0:1], 0x54
	s_lshl_b64 s[22:23], s[14:15], 3
	v_bfe_u32 v12, v0, 10, 10
	v_and_b32_e32 v2, 0x3ff, v0
	s_waitcnt lgkmcnt(0)
	s_add_u32 s20, s6, s22
	v_mov_b32_e32 v3, v4
	s_addc_u32 s21, s7, s23
	v_cmp_eq_u32_e64 s[2:3], 0, v12
	s_and_saveexec_b64 s[4:5], s[2:3]
	s_cbranch_execz .LBB9_4
; %bb.1:
	v_cmp_gt_i64_e32 vcc, s[8:9], v[2:3]
	v_mov_b32_e32 v5, 0
	s_and_saveexec_b64 s[14:15], vcc
	s_cbranch_execz .LBB9_3
; %bb.2:
	v_lshlrev_b32_e32 v0, 3, v2
	v_mov_b32_e32 v1, 0
	v_lshl_add_u64 v[0:1], s[20:21], 0, v[0:1]
	flat_load_dwordx2 v[4:5], v[0:1]
.LBB9_3:
	s_or_b64 exec, exec, s[14:15]
	v_lshl_add_u32 v0, v2, 3, 0
	s_waitcnt vmcnt(0) lgkmcnt(0)
	ds_write_b64 v0, v[4:5]
.LBB9_4:
	s_or_b64 exec, exec, s[4:5]
	v_cmp_lt_i64_e64 s[4:5], s[10:11], 1
	s_and_b64 vcc, exec, s[4:5]
	s_cbranch_vccnz .LBB9_29
; %bb.5:
	s_and_b32 s4, s18, 0xffff
	s_lshl_b32 s4, s4, 3
	s_add_i32 s33, s4, 0
	v_cmp_gt_i64_e64 s[4:5], s[8:9], v[2:3]
	v_mad_u64_u32 v[6:7], s[8:9], s12, v2, 0
	v_mov_b32_e32 v8, v7
	v_mad_u64_u32 v[8:9], s[8:9], s13, v2, v[8:9]
	v_mov_b32_e32 v7, v8
	v_add_u32_e32 v8, 2, v12
	v_mad_u64_u32 v[10:11], s[8:9], s12, v8, 0
	v_mov_b32_e32 v14, v11
	v_mad_u64_u32 v[14:15], s[8:9], s13, v8, v[14:15]
	v_mov_b32_e32 v11, v14
	v_lshlrev_b32_e32 v0, 3, v2
	v_mov_b32_e32 v1, 0
	v_cmp_gt_u64_e32 vcc, s[10:11], v[2:3]
	v_lshl_add_u64 v[10:11], v[10:11], 3, s[22:23]
	s_lshr_b32 s14, s18, 16
	s_and_b64 s[18:19], s[2:3], vcc
	v_lshl_add_u64 v[10:11], v[10:11], 0, v[0:1]
	v_lshl_add_u64 v[4:5], s[20:21], 0, v[0:1]
	;; [unrolled: 1-line block ×3, first 2 shown]
	s_add_u32 s20, s10, -1
	v_lshl_add_u64 v[10:11], s[6:7], 0, v[10:11]
	s_mul_i32 s6, s13, s14
	s_mul_hi_u32 s7, s12, s14
	v_add_u32_e32 v22, 0, v0
	v_add_u32_e32 v23, s33, v0
	s_addc_u32 s21, s11, -1
	s_add_i32 s7, s7, s6
	s_mul_i32 s6, s12, s14
	v_lshlrev_b32_e32 v0, 3, v12
	s_mov_b32 s15, 0
	v_mov_b32_e32 v9, v1
	s_lshl_b64 s[22:23], s[12:13], 3
	s_lshl_b64 s[24:25], s[6:7], 3
	v_add3_u32 v24, s33, v0, 16
	s_lshl_b32 s34, s14, 3
	s_mov_b64 s[8:9], 0
	v_mov_b32_e32 v0, v1
	s_mov_b64 s[26:27], 0
	s_branch .LBB9_7
.LBB9_6:                                ;   in Loop: Header=BB9_7 Depth=1
	s_or_b64 exec, exec, s[6:7]
	s_add_u32 s26, s26, 1
	s_addc_u32 s27, s27, 0
	v_lshl_add_u64 v[10:11], v[10:11], 0, s[22:23]
	s_cmp_eq_u64 s[26:27], s[10:11]
	v_add_u32_e32 v24, 8, v24
	s_cbranch_scc1 .LBB9_30
.LBB9_7:                                ; =>This Loop Header: Depth=1
                                        ;     Child Loop BB9_21 Depth 2
	s_lshl_b32 s35, s26, 3
	s_add_i32 s6, s35, 0
	v_mov_b32_e32 v12, s6
	s_waitcnt lgkmcnt(0)
	s_barrier
	ds_read_b64 v[14:15], v12
	s_waitcnt lgkmcnt(0)
	v_cmp_eq_f32_e32 vcc, 0, v14
	v_cmp_eq_f32_e64 s[6:7], 0, v15
	s_and_b64 s[6:7], vcc, s[6:7]
	s_cmp_eq_u64 s[8:9], 0
	s_cselect_b64 s[28:29], -1, 0
	s_and_b64 s[6:7], s[6:7], s[28:29]
	s_andn2_b64 vcc, exec, s[6:7]
	s_cbranch_vccz .LBB9_10
; %bb.8:                                ;   in Loop: Header=BB9_7 Depth=1
	v_cmp_ngt_f32_e64 s[6:7], |v14|, |v15|
	s_and_b64 vcc, exec, s[6:7]
	s_cbranch_vccz .LBB9_11
; %bb.9:                                ;   in Loop: Header=BB9_7 Depth=1
	v_div_scale_f32 v12, s[6:7], v15, v15, v14
	v_rcp_f32_e32 v13, v12
	v_div_scale_f32 v16, vcc, v14, v15, v14
	v_fma_f32 v17, -v12, v13, 1.0
	v_fmac_f32_e32 v13, v17, v13
	v_mul_f32_e32 v17, v16, v13
	v_fma_f32 v18, -v12, v17, v16
	v_fmac_f32_e32 v17, v18, v13
	v_fma_f32 v12, -v12, v17, v16
	v_div_fmas_f32 v12, v12, v13, v17
	v_div_fixup_f32 v12, v12, v15, v14
	v_fma_f32 v13, v14, v12, v15
	v_div_scale_f32 v16, s[6:7], v13, v13, 1.0
	v_rcp_f32_e32 v17, v16
	s_nop 0
	v_fma_f32 v18, -v16, v17, 1.0
	v_fmac_f32_e32 v17, v18, v17
	v_div_scale_f32 v18, vcc, 1.0, v13, 1.0
	v_mul_f32_e32 v19, v18, v17
	v_fma_f32 v20, -v16, v19, v18
	v_fmac_f32_e32 v19, v20, v17
	v_fma_f32 v16, -v16, v19, v18
	v_div_fmas_f32 v16, v16, v17, v19
	v_div_fixup_f32 v13, v16, v13, 1.0
	v_mul_f32_e32 v16, v12, v13
	v_xor_b32_e32 v17, 0x80000000, v13
	v_mov_b32_e32 v12, v16
	v_mov_b64_e32 v[18:19], v[16:17]
	s_cbranch_execz .LBB9_12
	s_branch .LBB9_13
.LBB9_10:                               ;   in Loop: Header=BB9_7 Depth=1
                                        ; implicit-def: $vgpr17
                                        ; implicit-def: $vgpr12
                                        ; implicit-def: $vgpr18_vgpr19
	s_branch .LBB9_14
.LBB9_11:                               ;   in Loop: Header=BB9_7 Depth=1
                                        ; implicit-def: $vgpr17
                                        ; implicit-def: $vgpr12
                                        ; implicit-def: $vgpr18_vgpr19
.LBB9_12:                               ;   in Loop: Header=BB9_7 Depth=1
	v_div_scale_f32 v12, s[6:7], v14, v14, v15
	v_rcp_f32_e32 v13, v12
	v_div_scale_f32 v16, vcc, v15, v14, v15
	v_fma_f32 v17, -v12, v13, 1.0
	v_fmac_f32_e32 v13, v17, v13
	v_mul_f32_e32 v17, v16, v13
	v_fma_f32 v18, -v12, v17, v16
	v_fmac_f32_e32 v17, v18, v13
	v_fma_f32 v12, -v12, v17, v16
	v_div_fmas_f32 v12, v12, v13, v17
	v_div_fixup_f32 v12, v12, v14, v15
	v_fma_f32 v13, v15, v12, v14
	v_div_scale_f32 v16, s[6:7], v13, v13, 1.0
	v_rcp_f32_e32 v17, v16
	s_nop 0
	v_fma_f32 v18, -v16, v17, 1.0
	v_fmac_f32_e32 v17, v18, v17
	v_div_scale_f32 v18, vcc, 1.0, v13, 1.0
	v_mul_f32_e32 v19, v18, v17
	v_fma_f32 v20, -v16, v19, v18
	v_fmac_f32_e32 v19, v20, v17
	v_fma_f32 v16, -v16, v19, v18
	v_div_fmas_f32 v16, v16, v17, v19
	v_div_fixup_f32 v16, v16, v13, 1.0
	v_mul_f32_e64 v17, v12, -v16
	v_mov_b32_e32 v12, v16
	v_mov_b64_e32 v[18:19], v[16:17]
.LBB9_13:                               ;   in Loop: Header=BB9_7 Depth=1
	s_cbranch_execnz .LBB9_15
.LBB9_14:                               ;   in Loop: Header=BB9_7 Depth=1
	s_add_u32 s8, s26, 1
	s_addc_u32 s9, s27, 0
	v_mov_b64_e32 v[18:19], v[14:15]
	v_mov_b32_e32 v12, v14
	v_mov_b32_e32 v17, v15
.LBB9_15:                               ;   in Loop: Header=BB9_7 Depth=1
	v_cmp_ne_u64_e32 vcc, s[26:27], v[2:3]
	s_and_saveexec_b64 s[6:7], vcc
	s_cbranch_execnz .LBB9_26
; %bb.16:                               ;   in Loop: Header=BB9_7 Depth=1
	s_or_b64 exec, exec, s[6:7]
	s_and_saveexec_b64 s[6:7], s[18:19]
	s_cbranch_execz .LBB9_18
.LBB9_17:                               ;   in Loop: Header=BB9_7 Depth=1
	v_lshl_add_u64 v[14:15], s[26:27], 3, v[6:7]
	flat_load_dwordx2 v[14:15], v[14:15]
	s_waitcnt vmcnt(0) lgkmcnt(0)
	ds_write_b64 v23, v[14:15]
.LBB9_18:                               ;   in Loop: Header=BB9_7 Depth=1
	s_or_b64 exec, exec, s[6:7]
	v_cmp_lt_u64_e32 vcc, s[26:27], v[2:3]
	s_and_b64 s[28:29], s[4:5], vcc
	s_waitcnt lgkmcnt(0)
	s_barrier
	s_and_saveexec_b64 s[6:7], s[28:29]
	s_cbranch_execz .LBB9_24
; %bb.19:                               ;   in Loop: Header=BB9_7 Depth=1
	v_lshl_add_u64 v[14:15], s[26:27], 0, v[8:9]
	v_mov_b32_e32 v13, v17
	v_cmp_gt_i64_e32 vcc, s[10:11], v[14:15]
	s_and_saveexec_b64 s[28:29], vcc
	s_cbranch_execz .LBB9_22
; %bb.20:                               ;   in Loop: Header=BB9_7 Depth=1
	v_mov_b32_e32 v16, v17
	v_mov_b32_e32 v17, v13
	v_mov_b32_e32 v18, v12
	v_mov_b32_e32 v19, v12
	s_mov_b64 s[30:31], 0
	v_mov_b32_e32 v25, v24
	v_mov_b64_e32 v[20:21], v[10:11]
.LBB9_21:                               ;   Parent Loop BB9_7 Depth=1
                                        ; =>  This Inner Loop Header: Depth=2
	flat_load_dwordx2 v[26:27], v[20:21]
	ds_read_b64 v[28:29], v25
	v_lshl_add_u64 v[14:15], v[14:15], 0, s[14:15]
	v_cmp_le_i64_e32 vcc, s[10:11], v[14:15]
	s_or_b64 s[30:31], vcc, s[30:31]
	v_add_u32_e32 v25, s34, v25
	s_waitcnt lgkmcnt(0)
	v_pk_mul_f32 v[30:31], v[16:17], v[28:29] op_sel:[0,1] op_sel_hi:[1,0]
	s_nop 0
	v_pk_fma_f32 v[32:33], v[18:19], v[28:29], v[30:31] neg_lo:[0,0,1] neg_hi:[0,0,1]
	v_pk_fma_f32 v[28:29], v[18:19], v[28:29], v[30:31]
	s_nop 0
	v_mov_b32_e32 v33, v29
	s_waitcnt vmcnt(0)
	v_pk_add_f32 v[26:27], v[26:27], v[32:33] neg_lo:[0,1] neg_hi:[0,1]
	flat_store_dwordx2 v[20:21], v[26:27]
	v_lshl_add_u64 v[20:21], v[20:21], 0, s[24:25]
	s_andn2_b64 exec, exec, s[30:31]
	s_cbranch_execnz .LBB9_21
.LBB9_22:                               ;   in Loop: Header=BB9_7 Depth=1
	s_or_b64 exec, exec, s[28:29]
	v_mov_b64_e32 v[14:15], s[20:21]
	v_cmp_lt_i64_e32 vcc, s[26:27], v[14:15]
	s_and_b64 s[28:29], s[2:3], vcc
	s_and_b64 exec, exec, s[28:29]
	s_cbranch_execz .LBB9_24
; %bb.23:                               ;   in Loop: Header=BB9_7 Depth=1
	s_add_u32 s28, s26, 1
	s_addc_u32 s29, s27, 0
	s_mul_i32 s30, s28, s13
	s_mul_hi_u32 s31, s28, s12
	s_add_i32 s30, s31, s30
	s_mul_i32 s29, s29, s12
	s_add_i32 s29, s30, s29
	s_mul_i32 s28, s28, s12
	v_lshl_add_u64 v[14:15], s[28:29], 3, v[4:5]
	flat_load_dwordx2 v[16:17], v[14:15]
	s_add_i32 s28, s33, s35
	v_mov_b32_e32 v18, s28
	ds_read_b64 v[18:19], v18 offset:8
	s_waitcnt lgkmcnt(0)
	v_pk_mul_f32 v[20:21], v[12:13], v[18:19] op_sel:[1,1] op_sel_hi:[1,0]
	s_nop 0
	v_pk_fma_f32 v[26:27], v[12:13], v[18:19], v[20:21] neg_lo:[0,0,1] neg_hi:[0,0,1]
	v_pk_fma_f32 v[12:13], v[12:13], v[18:19], v[20:21] op_sel_hi:[0,1,1]
	v_mov_b32_e32 v27, v13
	s_waitcnt vmcnt(0)
	v_pk_add_f32 v[12:13], v[16:17], v[26:27] neg_lo:[0,1] neg_hi:[0,1]
	flat_store_dwordx2 v[14:15], v[12:13]
	ds_write_b64 v22, v[12:13]
.LBB9_24:                               ;   in Loop: Header=BB9_7 Depth=1
	s_or_b64 exec, exec, s[6:7]
	v_cmp_ge_u64_e32 vcc, s[26:27], v[2:3]
	s_and_b64 s[28:29], s[2:3], vcc
	s_and_saveexec_b64 s[6:7], s[28:29]
	s_cbranch_execz .LBB9_6
; %bb.25:                               ;   in Loop: Header=BB9_7 Depth=1
	ds_write_b64 v22, v[0:1]
	s_branch .LBB9_6
.LBB9_26:                               ;   in Loop: Header=BB9_7 Depth=1
	ds_read_b64 v[12:13], v22
	v_cmp_le_u64_e32 vcc, s[26:27], v[2:3]
	s_and_b64 s[28:29], s[4:5], vcc
	s_and_b64 s[30:31], s[2:3], s[28:29]
	s_waitcnt lgkmcnt(0)
	v_pk_mul_f32 v[14:15], v[18:19], v[12:13] op_sel:[1,1] op_sel_hi:[1,0]
	s_nop 0
	v_pk_fma_f32 v[16:17], v[18:19], v[12:13], v[14:15] op_sel_hi:[0,1,1]
	v_pk_fma_f32 v[12:13], v[18:19], v[12:13], v[14:15] op_sel_hi:[0,1,1] neg_lo:[0,0,1] neg_hi:[0,0,1]
	s_and_saveexec_b64 s[28:29], s[30:31]
	s_cbranch_execz .LBB9_28
; %bb.27:                               ;   in Loop: Header=BB9_7 Depth=1
	s_mul_i32 s30, s26, s13
	s_mul_hi_u32 s31, s26, s12
	s_add_i32 s30, s31, s30
	s_mul_i32 s31, s27, s12
	s_add_i32 s31, s30, s31
	s_mul_i32 s30, s26, s12
	v_mov_b32_e32 v13, v17
	v_lshl_add_u64 v[14:15], s[30:31], 3, v[4:5]
	flat_store_dwordx2 v[14:15], v[12:13]
.LBB9_28:                               ;   in Loop: Header=BB9_7 Depth=1
	s_or_b64 exec, exec, s[28:29]
	s_or_b64 exec, exec, s[6:7]
	s_and_saveexec_b64 s[6:7], s[18:19]
	s_cbranch_execnz .LBB9_17
	s_branch .LBB9_18
.LBB9_29:
	s_mov_b64 s[8:9], 0
.LBB9_30:
	v_cmp_eq_u32_e32 vcc, 0, v2
	s_and_saveexec_b64 s[4:5], vcc
	s_cbranch_execz .LBB9_33
; %bb.31:
	s_load_dwordx2 s[4:5], s[0:1], 0x30
	v_mov_b32_e32 v0, 0
	v_cmp_gt_i64_e64 s[10:11], s[8:9], 0
	s_waitcnt lgkmcnt(0)
	s_add_u32 s4, s4, s16
	s_addc_u32 s5, s5, s17
	global_load_dwordx2 v[2:3], v0, s[4:5]
	s_waitcnt vmcnt(0)
	v_readfirstlane_b32 s6, v2
	v_readfirstlane_b32 s7, v3
	s_cmp_eq_u64 s[6:7], 0
	s_cselect_b64 s[6:7], -1, 0
	s_and_b64 s[6:7], s[6:7], s[10:11]
	s_and_b64 s[2:3], s[2:3], s[6:7]
	s_and_b64 exec, exec, s[2:3]
	s_cbranch_execz .LBB9_33
; %bb.32:
	s_load_dwordx2 s[0:1], s[0:1], 0x40
	s_waitcnt lgkmcnt(0)
	s_add_u32 s0, s8, s0
	s_addc_u32 s1, s9, s1
	v_mov_b64_e32 v[2:3], s[0:1]
	global_store_dwordx2 v0, v[2:3], s[4:5]
.LBB9_33:
	s_endpgm
	.section	.rodata,"a",@progbits
	.p2align	6, 0x0
	.amdhsa_kernel _ZN9rocsolver6v33100L23getf2_npvt_panel_kernelI19rocblas_complex_numIfEllPKPS3_EEvT0_S7_T2_lS7_lPT1_S7_S7_
		.amdhsa_group_segment_fixed_size 0
		.amdhsa_private_segment_fixed_size 0
		.amdhsa_kernarg_size 328
		.amdhsa_user_sgpr_count 2
		.amdhsa_user_sgpr_dispatch_ptr 0
		.amdhsa_user_sgpr_queue_ptr 0
		.amdhsa_user_sgpr_kernarg_segment_ptr 1
		.amdhsa_user_sgpr_dispatch_id 0
		.amdhsa_user_sgpr_kernarg_preload_length 0
		.amdhsa_user_sgpr_kernarg_preload_offset 0
		.amdhsa_user_sgpr_private_segment_size 0
		.amdhsa_uses_dynamic_stack 0
		.amdhsa_enable_private_segment 0
		.amdhsa_system_sgpr_workgroup_id_x 1
		.amdhsa_system_sgpr_workgroup_id_y 0
		.amdhsa_system_sgpr_workgroup_id_z 1
		.amdhsa_system_sgpr_workgroup_info 0
		.amdhsa_system_vgpr_workitem_id 1
		.amdhsa_next_free_vgpr 34
		.amdhsa_next_free_sgpr 36
		.amdhsa_accum_offset 36
		.amdhsa_reserve_vcc 1
		.amdhsa_float_round_mode_32 0
		.amdhsa_float_round_mode_16_64 0
		.amdhsa_float_denorm_mode_32 3
		.amdhsa_float_denorm_mode_16_64 3
		.amdhsa_dx10_clamp 1
		.amdhsa_ieee_mode 1
		.amdhsa_fp16_overflow 0
		.amdhsa_tg_split 0
		.amdhsa_exception_fp_ieee_invalid_op 0
		.amdhsa_exception_fp_denorm_src 0
		.amdhsa_exception_fp_ieee_div_zero 0
		.amdhsa_exception_fp_ieee_overflow 0
		.amdhsa_exception_fp_ieee_underflow 0
		.amdhsa_exception_fp_ieee_inexact 0
		.amdhsa_exception_int_div_zero 0
	.end_amdhsa_kernel
	.section	.text._ZN9rocsolver6v33100L23getf2_npvt_panel_kernelI19rocblas_complex_numIfEllPKPS3_EEvT0_S7_T2_lS7_lPT1_S7_S7_,"axG",@progbits,_ZN9rocsolver6v33100L23getf2_npvt_panel_kernelI19rocblas_complex_numIfEllPKPS3_EEvT0_S7_T2_lS7_lPT1_S7_S7_,comdat
.Lfunc_end9:
	.size	_ZN9rocsolver6v33100L23getf2_npvt_panel_kernelI19rocblas_complex_numIfEllPKPS3_EEvT0_S7_T2_lS7_lPT1_S7_S7_, .Lfunc_end9-_ZN9rocsolver6v33100L23getf2_npvt_panel_kernelI19rocblas_complex_numIfEllPKPS3_EEvT0_S7_T2_lS7_lPT1_S7_S7_
                                        ; -- End function
	.set _ZN9rocsolver6v33100L23getf2_npvt_panel_kernelI19rocblas_complex_numIfEllPKPS3_EEvT0_S7_T2_lS7_lPT1_S7_S7_.num_vgpr, 34
	.set _ZN9rocsolver6v33100L23getf2_npvt_panel_kernelI19rocblas_complex_numIfEllPKPS3_EEvT0_S7_T2_lS7_lPT1_S7_S7_.num_agpr, 0
	.set _ZN9rocsolver6v33100L23getf2_npvt_panel_kernelI19rocblas_complex_numIfEllPKPS3_EEvT0_S7_T2_lS7_lPT1_S7_S7_.numbered_sgpr, 36
	.set _ZN9rocsolver6v33100L23getf2_npvt_panel_kernelI19rocblas_complex_numIfEllPKPS3_EEvT0_S7_T2_lS7_lPT1_S7_S7_.num_named_barrier, 0
	.set _ZN9rocsolver6v33100L23getf2_npvt_panel_kernelI19rocblas_complex_numIfEllPKPS3_EEvT0_S7_T2_lS7_lPT1_S7_S7_.private_seg_size, 0
	.set _ZN9rocsolver6v33100L23getf2_npvt_panel_kernelI19rocblas_complex_numIfEllPKPS3_EEvT0_S7_T2_lS7_lPT1_S7_S7_.uses_vcc, 1
	.set _ZN9rocsolver6v33100L23getf2_npvt_panel_kernelI19rocblas_complex_numIfEllPKPS3_EEvT0_S7_T2_lS7_lPT1_S7_S7_.uses_flat_scratch, 0
	.set _ZN9rocsolver6v33100L23getf2_npvt_panel_kernelI19rocblas_complex_numIfEllPKPS3_EEvT0_S7_T2_lS7_lPT1_S7_S7_.has_dyn_sized_stack, 0
	.set _ZN9rocsolver6v33100L23getf2_npvt_panel_kernelI19rocblas_complex_numIfEllPKPS3_EEvT0_S7_T2_lS7_lPT1_S7_S7_.has_recursion, 0
	.set _ZN9rocsolver6v33100L23getf2_npvt_panel_kernelI19rocblas_complex_numIfEllPKPS3_EEvT0_S7_T2_lS7_lPT1_S7_S7_.has_indirect_call, 0
	.section	.AMDGPU.csdata,"",@progbits
; Kernel info:
; codeLenInByte = 1592
; TotalNumSgprs: 42
; NumVgprs: 34
; NumAgprs: 0
; TotalNumVgprs: 34
; ScratchSize: 0
; MemoryBound: 0
; FloatMode: 240
; IeeeMode: 1
; LDSByteSize: 0 bytes/workgroup (compile time only)
; SGPRBlocks: 5
; VGPRBlocks: 4
; NumSGPRsForWavesPerEU: 42
; NumVGPRsForWavesPerEU: 34
; AccumOffset: 36
; Occupancy: 8
; WaveLimiterHint : 1
; COMPUTE_PGM_RSRC2:SCRATCH_EN: 0
; COMPUTE_PGM_RSRC2:USER_SGPR: 2
; COMPUTE_PGM_RSRC2:TRAP_HANDLER: 0
; COMPUTE_PGM_RSRC2:TGID_X_EN: 1
; COMPUTE_PGM_RSRC2:TGID_Y_EN: 0
; COMPUTE_PGM_RSRC2:TGID_Z_EN: 1
; COMPUTE_PGM_RSRC2:TIDIG_COMP_CNT: 1
; COMPUTE_PGM_RSRC3_GFX90A:ACCUM_OFFSET: 8
; COMPUTE_PGM_RSRC3_GFX90A:TG_SPLIT: 0
	.section	.text._ZN9rocsolver6v33100L25getf2_scale_update_kernelI19rocblas_complex_numIfElPS3_EEvT0_S5_PT_T1_lS5_l,"axG",@progbits,_ZN9rocsolver6v33100L25getf2_scale_update_kernelI19rocblas_complex_numIfElPS3_EEvT0_S5_PT_T1_lS5_l,comdat
	.globl	_ZN9rocsolver6v33100L25getf2_scale_update_kernelI19rocblas_complex_numIfElPS3_EEvT0_S5_PT_T1_lS5_l ; -- Begin function _ZN9rocsolver6v33100L25getf2_scale_update_kernelI19rocblas_complex_numIfElPS3_EEvT0_S5_PT_T1_lS5_l
	.p2align	8
	.type	_ZN9rocsolver6v33100L25getf2_scale_update_kernelI19rocblas_complex_numIfElPS3_EEvT0_S5_PT_T1_lS5_l,@function
_ZN9rocsolver6v33100L25getf2_scale_update_kernelI19rocblas_complex_numIfElPS3_EEvT0_S5_PT_T1_lS5_l: ; @_ZN9rocsolver6v33100L25getf2_scale_update_kernelI19rocblas_complex_numIfElPS3_EEvT0_S5_PT_T1_lS5_l
; %bb.0:
	s_mov_b32 s22, s3
	s_load_dwordx8 s[4:11], s[0:1], 0x0
	s_load_dword s3, s[0:1], 0x44
	s_load_dwordx8 s[12:19], s[0:1], 0x20
	s_mov_b32 s23, 0
	v_and_b32_e32 v2, 0x3ff, v0
	v_bfe_u32 v0, v0, 10, 10
	s_waitcnt lgkmcnt(0)
	s_lshr_b32 s18, s3, 16
	s_mul_i32 s0, s17, s22
	s_mul_hi_u32 s1, s16, s22
	s_add_i32 s1, s1, s0
	s_mul_i32 s0, s16, s22
	s_and_b32 s3, s3, 0xffff
	s_lshl_b64 s[16:17], s[0:1], 3
	s_add_u32 s0, s10, s16
	s_addc_u32 s1, s11, s17
	s_lshl_b64 s[12:13], s[12:13], 3
	s_add_u32 s20, s0, s12
	s_addc_u32 s21, s1, s13
	s_lshl_b64 s[0:1], s[22:23], 3
	v_mov_b32_e32 v1, 0
	s_add_u32 s8, s8, s0
	v_mad_u32_u24 v4, v2, s18, v0
	v_mov_b32_e32 v5, v1
	s_addc_u32 s9, s9, s1
	v_cmp_gt_i64_e32 vcc, s[6:7], v[4:5]
	s_and_saveexec_b64 s[0:1], vcc
	s_cbranch_execz .LBB10_2
; %bb.1:
	s_lshl_b32 s19, s3, 3
	v_mad_u64_u32 v[6:7], s[24:25], s14, v4, 0
	s_add_i32 s19, s19, 0
	s_lshl_b64 s[22:23], s[14:15], 3
	v_mov_b32_e32 v8, v7
	s_add_u32 s22, s20, s22
	v_mad_u64_u32 v[8:9], s[24:25], s15, v4, v[8:9]
	s_addc_u32 s23, s21, s23
	v_mov_b32_e32 v7, v8
	v_lshl_add_u64 v[6:7], v[6:7], 3, s[22:23]
	global_load_dwordx2 v[6:7], v[6:7], off
	v_lshl_add_u32 v3, v4, 3, s19
	s_waitcnt vmcnt(0)
	ds_write_b64 v3, v[6:7]
.LBB10_2:
	s_or_b64 exec, exec, s[0:1]
	v_mov_b32_e32 v3, v1
	v_mov_b32_e32 v4, s2
	v_mad_u64_u32 v[6:7], s[0:1], s3, v4, v[2:3]
	v_cmp_eq_u32_e64 s[0:1], 0, v0
	v_cmp_gt_i64_e32 vcc, s[4:5], v[6:7]
	s_and_b64 s[4:5], s[0:1], vcc
	v_lshl_add_u32 v2, v2, 3, 0
	s_and_saveexec_b64 s[0:1], s[4:5]
	s_cbranch_execz .LBB10_4
; %bb.3:
	v_lshl_add_u64 v[4:5], v[6:7], 3, s[20:21]
	global_load_dwordx2 v[8:9], v[4:5], off offset:8
	s_load_dwordx2 s[4:5], s[8:9], 0x0
	s_waitcnt vmcnt(0) lgkmcnt(0)
	v_pk_mul_f32 v[10:11], s[4:5], v[8:9] op_sel:[1,1] op_sel_hi:[0,1]
	v_pk_fma_f32 v[12:13], s[4:5], v[8:9], v[10:11] neg_lo:[0,0,1] neg_hi:[0,0,1]
	v_pk_fma_f32 v[8:9], s[4:5], v[8:9], v[10:11] op_sel_hi:[1,0,1]
	s_nop 0
	v_mov_b32_e32 v13, v9
	ds_write_b64 v2, v[12:13]
	global_store_dwordx2 v[4:5], v[12:13], off offset:8
.LBB10_4:
	s_or_b64 exec, exec, s[0:1]
	v_cmp_gt_i64_e64 s[0:1], s[6:7], v[0:1]
	s_and_b64 s[0:1], vcc, s[0:1]
	s_waitcnt lgkmcnt(0)
	s_barrier
	s_and_saveexec_b64 s[4:5], s[0:1]
	s_cbranch_execz .LBB10_7
; %bb.5:
	s_add_u32 s0, s12, s16
	v_lshlrev_b32_e32 v12, 3, v0
	s_addc_u32 s1, s13, s17
	v_add_u32_e32 v11, 8, v12
	v_mov_b64_e32 v[8:9], s[0:1]
	v_mad_u64_u32 v[8:9], s[0:1], s14, v11, v[8:9]
	ds_read_b64 v[2:3], v2
	v_mov_b32_e32 v10, v9
	v_mad_u64_u32 v[10:11], s[0:1], s15, v11, v[10:11]
	v_mov_b32_e32 v9, v10
	v_lshl_add_u64 v[6:7], v[6:7], 3, v[8:9]
	s_mul_i32 s0, s15, s18
	s_mul_hi_u32 s1, s14, s18
	s_lshl_b32 s2, s3, 3
	v_lshl_add_u64 v[6:7], s[10:11], 0, v[6:7]
	s_add_i32 s1, s1, s0
	s_mul_i32 s0, s14, s18
	s_add_i32 s2, s2, 0
	s_mov_b32 s19, 0
	s_waitcnt lgkmcnt(0)
	v_mov_b32_e32 v4, v2
	v_mov_b32_e32 v5, v2
	;; [unrolled: 1-line block ×3, first 2 shown]
	v_lshl_add_u64 v[6:7], v[6:7], 0, 8
	s_lshl_b64 s[0:1], s[0:1], 3
	v_add_u32_e32 v8, s2, v12
	s_lshl_b32 s4, s18, 3
	s_mov_b64 s[2:3], 0
.LBB10_6:                               ; =>This Inner Loop Header: Depth=1
	global_load_dwordx2 v[10:11], v[6:7], off
	ds_read_b64 v[12:13], v8
	v_lshl_add_u64 v[0:1], v[0:1], 0, s[18:19]
	v_cmp_le_i64_e32 vcc, s[6:7], v[0:1]
	s_or_b64 s[2:3], vcc, s[2:3]
	v_add_u32_e32 v8, s4, v8
	s_waitcnt lgkmcnt(0)
	v_pk_mul_f32 v[14:15], v[12:13], v[2:3] op_sel:[1,0] op_sel_hi:[0,1]
	v_pk_fma_f32 v[16:17], v[12:13], v[4:5], v[14:15] neg_lo:[0,0,1] neg_hi:[0,0,1]
	v_pk_fma_f32 v[12:13], v[12:13], v[4:5], v[14:15]
	s_nop 0
	v_mov_b32_e32 v17, v13
	s_waitcnt vmcnt(0)
	v_pk_add_f32 v[10:11], v[10:11], v[16:17] neg_lo:[0,1] neg_hi:[0,1]
	global_store_dwordx2 v[6:7], v[10:11], off
	v_lshl_add_u64 v[6:7], v[6:7], 0, s[0:1]
	s_andn2_b64 exec, exec, s[2:3]
	s_cbranch_execnz .LBB10_6
.LBB10_7:
	s_endpgm
	.section	.rodata,"a",@progbits
	.p2align	6, 0x0
	.amdhsa_kernel _ZN9rocsolver6v33100L25getf2_scale_update_kernelI19rocblas_complex_numIfElPS3_EEvT0_S5_PT_T1_lS5_l
		.amdhsa_group_segment_fixed_size 0
		.amdhsa_private_segment_fixed_size 0
		.amdhsa_kernarg_size 312
		.amdhsa_user_sgpr_count 2
		.amdhsa_user_sgpr_dispatch_ptr 0
		.amdhsa_user_sgpr_queue_ptr 0
		.amdhsa_user_sgpr_kernarg_segment_ptr 1
		.amdhsa_user_sgpr_dispatch_id 0
		.amdhsa_user_sgpr_kernarg_preload_length 0
		.amdhsa_user_sgpr_kernarg_preload_offset 0
		.amdhsa_user_sgpr_private_segment_size 0
		.amdhsa_uses_dynamic_stack 0
		.amdhsa_enable_private_segment 0
		.amdhsa_system_sgpr_workgroup_id_x 1
		.amdhsa_system_sgpr_workgroup_id_y 0
		.amdhsa_system_sgpr_workgroup_id_z 1
		.amdhsa_system_sgpr_workgroup_info 0
		.amdhsa_system_vgpr_workitem_id 1
		.amdhsa_next_free_vgpr 18
		.amdhsa_next_free_sgpr 26
		.amdhsa_accum_offset 20
		.amdhsa_reserve_vcc 1
		.amdhsa_float_round_mode_32 0
		.amdhsa_float_round_mode_16_64 0
		.amdhsa_float_denorm_mode_32 3
		.amdhsa_float_denorm_mode_16_64 3
		.amdhsa_dx10_clamp 1
		.amdhsa_ieee_mode 1
		.amdhsa_fp16_overflow 0
		.amdhsa_tg_split 0
		.amdhsa_exception_fp_ieee_invalid_op 0
		.amdhsa_exception_fp_denorm_src 0
		.amdhsa_exception_fp_ieee_div_zero 0
		.amdhsa_exception_fp_ieee_overflow 0
		.amdhsa_exception_fp_ieee_underflow 0
		.amdhsa_exception_fp_ieee_inexact 0
		.amdhsa_exception_int_div_zero 0
	.end_amdhsa_kernel
	.section	.text._ZN9rocsolver6v33100L25getf2_scale_update_kernelI19rocblas_complex_numIfElPS3_EEvT0_S5_PT_T1_lS5_l,"axG",@progbits,_ZN9rocsolver6v33100L25getf2_scale_update_kernelI19rocblas_complex_numIfElPS3_EEvT0_S5_PT_T1_lS5_l,comdat
.Lfunc_end10:
	.size	_ZN9rocsolver6v33100L25getf2_scale_update_kernelI19rocblas_complex_numIfElPS3_EEvT0_S5_PT_T1_lS5_l, .Lfunc_end10-_ZN9rocsolver6v33100L25getf2_scale_update_kernelI19rocblas_complex_numIfElPS3_EEvT0_S5_PT_T1_lS5_l
                                        ; -- End function
	.set _ZN9rocsolver6v33100L25getf2_scale_update_kernelI19rocblas_complex_numIfElPS3_EEvT0_S5_PT_T1_lS5_l.num_vgpr, 18
	.set _ZN9rocsolver6v33100L25getf2_scale_update_kernelI19rocblas_complex_numIfElPS3_EEvT0_S5_PT_T1_lS5_l.num_agpr, 0
	.set _ZN9rocsolver6v33100L25getf2_scale_update_kernelI19rocblas_complex_numIfElPS3_EEvT0_S5_PT_T1_lS5_l.numbered_sgpr, 26
	.set _ZN9rocsolver6v33100L25getf2_scale_update_kernelI19rocblas_complex_numIfElPS3_EEvT0_S5_PT_T1_lS5_l.num_named_barrier, 0
	.set _ZN9rocsolver6v33100L25getf2_scale_update_kernelI19rocblas_complex_numIfElPS3_EEvT0_S5_PT_T1_lS5_l.private_seg_size, 0
	.set _ZN9rocsolver6v33100L25getf2_scale_update_kernelI19rocblas_complex_numIfElPS3_EEvT0_S5_PT_T1_lS5_l.uses_vcc, 1
	.set _ZN9rocsolver6v33100L25getf2_scale_update_kernelI19rocblas_complex_numIfElPS3_EEvT0_S5_PT_T1_lS5_l.uses_flat_scratch, 0
	.set _ZN9rocsolver6v33100L25getf2_scale_update_kernelI19rocblas_complex_numIfElPS3_EEvT0_S5_PT_T1_lS5_l.has_dyn_sized_stack, 0
	.set _ZN9rocsolver6v33100L25getf2_scale_update_kernelI19rocblas_complex_numIfElPS3_EEvT0_S5_PT_T1_lS5_l.has_recursion, 0
	.set _ZN9rocsolver6v33100L25getf2_scale_update_kernelI19rocblas_complex_numIfElPS3_EEvT0_S5_PT_T1_lS5_l.has_indirect_call, 0
	.section	.AMDGPU.csdata,"",@progbits
; Kernel info:
; codeLenInByte = 632
; TotalNumSgprs: 32
; NumVgprs: 18
; NumAgprs: 0
; TotalNumVgprs: 18
; ScratchSize: 0
; MemoryBound: 0
; FloatMode: 240
; IeeeMode: 1
; LDSByteSize: 0 bytes/workgroup (compile time only)
; SGPRBlocks: 3
; VGPRBlocks: 2
; NumSGPRsForWavesPerEU: 32
; NumVGPRsForWavesPerEU: 18
; AccumOffset: 20
; Occupancy: 8
; WaveLimiterHint : 0
; COMPUTE_PGM_RSRC2:SCRATCH_EN: 0
; COMPUTE_PGM_RSRC2:USER_SGPR: 2
; COMPUTE_PGM_RSRC2:TRAP_HANDLER: 0
; COMPUTE_PGM_RSRC2:TGID_X_EN: 1
; COMPUTE_PGM_RSRC2:TGID_Y_EN: 0
; COMPUTE_PGM_RSRC2:TGID_Z_EN: 1
; COMPUTE_PGM_RSRC2:TIDIG_COMP_CNT: 1
; COMPUTE_PGM_RSRC3_GFX90A:ACCUM_OFFSET: 4
; COMPUTE_PGM_RSRC3_GFX90A:TG_SPLIT: 0
	.section	.text._ZN9rocsolver6v33100L25getf2_scale_update_kernelI19rocblas_complex_numIfElPKPS3_EEvT0_S7_PT_T1_lS7_l,"axG",@progbits,_ZN9rocsolver6v33100L25getf2_scale_update_kernelI19rocblas_complex_numIfElPKPS3_EEvT0_S7_PT_T1_lS7_l,comdat
	.globl	_ZN9rocsolver6v33100L25getf2_scale_update_kernelI19rocblas_complex_numIfElPKPS3_EEvT0_S7_PT_T1_lS7_l ; -- Begin function _ZN9rocsolver6v33100L25getf2_scale_update_kernelI19rocblas_complex_numIfElPKPS3_EEvT0_S7_PT_T1_lS7_l
	.p2align	8
	.type	_ZN9rocsolver6v33100L25getf2_scale_update_kernelI19rocblas_complex_numIfElPKPS3_EEvT0_S7_PT_T1_lS7_l,@function
_ZN9rocsolver6v33100L25getf2_scale_update_kernelI19rocblas_complex_numIfElPKPS3_EEvT0_S7_PT_T1_lS7_l: ; @_ZN9rocsolver6v33100L25getf2_scale_update_kernelI19rocblas_complex_numIfElPKPS3_EEvT0_S7_PT_T1_lS7_l
; %bb.0:
	s_mov_b32 s18, s3
	s_load_dword s3, s[0:1], 0x44
	s_load_dwordx4 s[12:15], s[0:1], 0x20
	s_load_dwordx8 s[4:11], s[0:1], 0x0
	s_mov_b32 s19, 0
	s_lshl_b64 s[0:1], s[18:19], 3
	s_waitcnt lgkmcnt(0)
	s_lshr_b32 s16, s3, 16
	s_and_b32 s3, s3, 0xffff
	s_add_u32 s10, s10, s0
	s_addc_u32 s11, s11, s1
	s_load_dwordx2 s[10:11], s[10:11], 0x0
	s_lshl_b64 s[12:13], s[12:13], 3
	v_and_b32_e32 v2, 0x3ff, v0
	v_bfe_u32 v0, v0, 10, 10
	v_mov_b32_e32 v1, 0
	s_waitcnt lgkmcnt(0)
	s_add_u32 s18, s10, s12
	s_addc_u32 s19, s11, s13
	s_add_u32 s8, s8, s0
	v_mad_u32_u24 v4, v2, s16, v0
	v_mov_b32_e32 v5, v1
	s_addc_u32 s9, s9, s1
	v_cmp_gt_i64_e32 vcc, s[6:7], v[4:5]
	s_and_saveexec_b64 s[0:1], vcc
	s_cbranch_execz .LBB11_2
; %bb.1:
	s_lshl_b32 s17, s3, 3
	v_mad_u64_u32 v[6:7], s[22:23], s14, v4, 0
	s_add_i32 s17, s17, 0
	s_lshl_b64 s[20:21], s[14:15], 3
	v_mov_b32_e32 v8, v7
	s_add_u32 s20, s18, s20
	v_mad_u64_u32 v[8:9], s[22:23], s15, v4, v[8:9]
	s_addc_u32 s21, s19, s21
	v_mov_b32_e32 v7, v8
	v_lshl_add_u64 v[6:7], v[6:7], 3, s[20:21]
	flat_load_dwordx2 v[6:7], v[6:7]
	v_lshl_add_u32 v3, v4, 3, s17
	s_waitcnt vmcnt(0) lgkmcnt(0)
	ds_write_b64 v3, v[6:7]
.LBB11_2:
	s_or_b64 exec, exec, s[0:1]
	v_mov_b32_e32 v3, v1
	v_mov_b32_e32 v4, s2
	v_mad_u64_u32 v[4:5], s[0:1], s3, v4, v[2:3]
	v_cmp_eq_u32_e64 s[0:1], 0, v0
	v_cmp_gt_i64_e32 vcc, s[4:5], v[4:5]
	s_and_b64 s[4:5], s[0:1], vcc
	v_lshl_add_u32 v6, v2, 3, 0
	s_and_saveexec_b64 s[0:1], s[4:5]
	s_cbranch_execz .LBB11_4
; %bb.3:
	v_lshl_add_u64 v[2:3], v[4:5], 3, s[18:19]
	flat_load_dwordx2 v[8:9], v[2:3] offset:8
	s_load_dwordx2 s[4:5], s[8:9], 0x0
	s_waitcnt vmcnt(0) lgkmcnt(0)
	v_pk_mul_f32 v[10:11], s[4:5], v[8:9] op_sel:[1,1] op_sel_hi:[0,1]
	v_pk_fma_f32 v[12:13], s[4:5], v[8:9], v[10:11] neg_lo:[0,0,1] neg_hi:[0,0,1]
	v_pk_fma_f32 v[8:9], s[4:5], v[8:9], v[10:11] op_sel_hi:[1,0,1]
	s_nop 0
	v_mov_b32_e32 v13, v9
	ds_write_b64 v6, v[12:13]
	flat_store_dwordx2 v[2:3], v[12:13] offset:8
.LBB11_4:
	s_or_b64 exec, exec, s[0:1]
	v_cmp_gt_i64_e64 s[0:1], s[6:7], v[0:1]
	s_and_b64 s[0:1], vcc, s[0:1]
	s_waitcnt lgkmcnt(0)
	s_barrier
	s_and_saveexec_b64 s[4:5], s[0:1]
	s_cbranch_execz .LBB11_7
; %bb.5:
	v_lshlrev_b32_e32 v7, 3, v0
	v_add_u32_e32 v9, 8, v7
	v_mov_b64_e32 v[2:3], s[12:13]
	v_mad_u64_u32 v[2:3], s[0:1], s14, v9, v[2:3]
	v_mov_b32_e32 v8, v3
	v_mad_u64_u32 v[8:9], s[0:1], s15, v9, v[8:9]
	v_mov_b32_e32 v3, v8
	v_lshl_add_u64 v[2:3], v[4:5], 3, v[2:3]
	s_mul_i32 s0, s15, s16
	s_mul_hi_u32 s1, s14, s16
	s_lshl_b32 s2, s3, 3
	v_lshl_add_u64 v[2:3], s[10:11], 0, v[2:3]
	s_add_i32 s1, s1, s0
	s_mul_i32 s0, s14, s16
	s_add_i32 s2, s2, 0
	s_mov_b32 s17, 0
	v_lshl_add_u64 v[2:3], v[2:3], 0, 8
	s_lshl_b64 s[0:1], s[0:1], 3
	v_add_u32_e32 v4, s2, v7
	s_lshl_b32 s4, s16, 3
	s_mov_b64 s[2:3], 0
.LBB11_6:                               ; =>This Inner Loop Header: Depth=1
	flat_load_dwordx2 v[8:9], v[2:3]
	ds_read_b64 v[10:11], v6
	ds_read_b64 v[12:13], v4
	v_lshl_add_u64 v[0:1], v[0:1], 0, s[16:17]
	v_cmp_le_i64_e32 vcc, s[6:7], v[0:1]
	s_or_b64 s[2:3], vcc, s[2:3]
	v_add_u32_e32 v4, s4, v4
	s_waitcnt lgkmcnt(0)
	v_pk_mul_f32 v[14:15], v[12:13], v[10:11] op_sel:[1,1] op_sel_hi:[0,1]
	v_pk_fma_f32 v[16:17], v[12:13], v[10:11], v[14:15] neg_lo:[0,0,1] neg_hi:[0,0,1]
	v_pk_fma_f32 v[10:11], v[12:13], v[10:11], v[14:15] op_sel_hi:[1,0,1]
	s_nop 0
	v_mov_b32_e32 v17, v11
	s_waitcnt vmcnt(0)
	v_pk_add_f32 v[8:9], v[8:9], v[16:17] neg_lo:[0,1] neg_hi:[0,1]
	flat_store_dwordx2 v[2:3], v[8:9]
	v_lshl_add_u64 v[2:3], v[2:3], 0, s[0:1]
	s_andn2_b64 exec, exec, s[2:3]
	s_cbranch_execnz .LBB11_6
.LBB11_7:
	s_endpgm
	.section	.rodata,"a",@progbits
	.p2align	6, 0x0
	.amdhsa_kernel _ZN9rocsolver6v33100L25getf2_scale_update_kernelI19rocblas_complex_numIfElPKPS3_EEvT0_S7_PT_T1_lS7_l
		.amdhsa_group_segment_fixed_size 0
		.amdhsa_private_segment_fixed_size 0
		.amdhsa_kernarg_size 312
		.amdhsa_user_sgpr_count 2
		.amdhsa_user_sgpr_dispatch_ptr 0
		.amdhsa_user_sgpr_queue_ptr 0
		.amdhsa_user_sgpr_kernarg_segment_ptr 1
		.amdhsa_user_sgpr_dispatch_id 0
		.amdhsa_user_sgpr_kernarg_preload_length 0
		.amdhsa_user_sgpr_kernarg_preload_offset 0
		.amdhsa_user_sgpr_private_segment_size 0
		.amdhsa_uses_dynamic_stack 0
		.amdhsa_enable_private_segment 0
		.amdhsa_system_sgpr_workgroup_id_x 1
		.amdhsa_system_sgpr_workgroup_id_y 0
		.amdhsa_system_sgpr_workgroup_id_z 1
		.amdhsa_system_sgpr_workgroup_info 0
		.amdhsa_system_vgpr_workitem_id 1
		.amdhsa_next_free_vgpr 18
		.amdhsa_next_free_sgpr 24
		.amdhsa_accum_offset 20
		.amdhsa_reserve_vcc 1
		.amdhsa_float_round_mode_32 0
		.amdhsa_float_round_mode_16_64 0
		.amdhsa_float_denorm_mode_32 3
		.amdhsa_float_denorm_mode_16_64 3
		.amdhsa_dx10_clamp 1
		.amdhsa_ieee_mode 1
		.amdhsa_fp16_overflow 0
		.amdhsa_tg_split 0
		.amdhsa_exception_fp_ieee_invalid_op 0
		.amdhsa_exception_fp_denorm_src 0
		.amdhsa_exception_fp_ieee_div_zero 0
		.amdhsa_exception_fp_ieee_overflow 0
		.amdhsa_exception_fp_ieee_underflow 0
		.amdhsa_exception_fp_ieee_inexact 0
		.amdhsa_exception_int_div_zero 0
	.end_amdhsa_kernel
	.section	.text._ZN9rocsolver6v33100L25getf2_scale_update_kernelI19rocblas_complex_numIfElPKPS3_EEvT0_S7_PT_T1_lS7_l,"axG",@progbits,_ZN9rocsolver6v33100L25getf2_scale_update_kernelI19rocblas_complex_numIfElPKPS3_EEvT0_S7_PT_T1_lS7_l,comdat
.Lfunc_end11:
	.size	_ZN9rocsolver6v33100L25getf2_scale_update_kernelI19rocblas_complex_numIfElPKPS3_EEvT0_S7_PT_T1_lS7_l, .Lfunc_end11-_ZN9rocsolver6v33100L25getf2_scale_update_kernelI19rocblas_complex_numIfElPKPS3_EEvT0_S7_PT_T1_lS7_l
                                        ; -- End function
	.set _ZN9rocsolver6v33100L25getf2_scale_update_kernelI19rocblas_complex_numIfElPKPS3_EEvT0_S7_PT_T1_lS7_l.num_vgpr, 18
	.set _ZN9rocsolver6v33100L25getf2_scale_update_kernelI19rocblas_complex_numIfElPKPS3_EEvT0_S7_PT_T1_lS7_l.num_agpr, 0
	.set _ZN9rocsolver6v33100L25getf2_scale_update_kernelI19rocblas_complex_numIfElPKPS3_EEvT0_S7_PT_T1_lS7_l.numbered_sgpr, 24
	.set _ZN9rocsolver6v33100L25getf2_scale_update_kernelI19rocblas_complex_numIfElPKPS3_EEvT0_S7_PT_T1_lS7_l.num_named_barrier, 0
	.set _ZN9rocsolver6v33100L25getf2_scale_update_kernelI19rocblas_complex_numIfElPKPS3_EEvT0_S7_PT_T1_lS7_l.private_seg_size, 0
	.set _ZN9rocsolver6v33100L25getf2_scale_update_kernelI19rocblas_complex_numIfElPKPS3_EEvT0_S7_PT_T1_lS7_l.uses_vcc, 1
	.set _ZN9rocsolver6v33100L25getf2_scale_update_kernelI19rocblas_complex_numIfElPKPS3_EEvT0_S7_PT_T1_lS7_l.uses_flat_scratch, 0
	.set _ZN9rocsolver6v33100L25getf2_scale_update_kernelI19rocblas_complex_numIfElPKPS3_EEvT0_S7_PT_T1_lS7_l.has_dyn_sized_stack, 0
	.set _ZN9rocsolver6v33100L25getf2_scale_update_kernelI19rocblas_complex_numIfElPKPS3_EEvT0_S7_PT_T1_lS7_l.has_recursion, 0
	.set _ZN9rocsolver6v33100L25getf2_scale_update_kernelI19rocblas_complex_numIfElPKPS3_EEvT0_S7_PT_T1_lS7_l.has_indirect_call, 0
	.section	.AMDGPU.csdata,"",@progbits
; Kernel info:
; codeLenInByte = 600
; TotalNumSgprs: 30
; NumVgprs: 18
; NumAgprs: 0
; TotalNumVgprs: 18
; ScratchSize: 0
; MemoryBound: 0
; FloatMode: 240
; IeeeMode: 1
; LDSByteSize: 0 bytes/workgroup (compile time only)
; SGPRBlocks: 3
; VGPRBlocks: 2
; NumSGPRsForWavesPerEU: 30
; NumVGPRsForWavesPerEU: 18
; AccumOffset: 20
; Occupancy: 8
; WaveLimiterHint : 1
; COMPUTE_PGM_RSRC2:SCRATCH_EN: 0
; COMPUTE_PGM_RSRC2:USER_SGPR: 2
; COMPUTE_PGM_RSRC2:TRAP_HANDLER: 0
; COMPUTE_PGM_RSRC2:TGID_X_EN: 1
; COMPUTE_PGM_RSRC2:TGID_Y_EN: 0
; COMPUTE_PGM_RSRC2:TGID_Z_EN: 1
; COMPUTE_PGM_RSRC2:TIDIG_COMP_CNT: 1
; COMPUTE_PGM_RSRC3_GFX90A:ACCUM_OFFSET: 4
; COMPUTE_PGM_RSRC3_GFX90A:TG_SPLIT: 0
	.section	.AMDGPU.gpr_maximums,"",@progbits
	.set amdgpu.max_num_vgpr, 0
	.set amdgpu.max_num_agpr, 0
	.set amdgpu.max_num_sgpr, 0
	.section	.AMDGPU.csdata,"",@progbits
	.type	__hip_cuid_cd173a5d5d06738a,@object ; @__hip_cuid_cd173a5d5d06738a
	.section	.bss,"aw",@nobits
	.globl	__hip_cuid_cd173a5d5d06738a
__hip_cuid_cd173a5d5d06738a:
	.byte	0                               ; 0x0
	.size	__hip_cuid_cd173a5d5d06738a, 1

	.ident	"AMD clang version 22.0.0git (https://github.com/RadeonOpenCompute/llvm-project roc-7.2.4 26084 f58b06dce1f9c15707c5f808fd002e18c2accf7e)"
	.section	".note.GNU-stack","",@progbits
	.addrsig
	.addrsig_sym __hip_cuid_cd173a5d5d06738a
	.amdgpu_metadata
---
amdhsa.kernels:
  - .agpr_count:     0
    .args:
      - .offset:         0
        .size:           4
        .value_kind:     by_value
      - .offset:         4
        .size:           4
        .value_kind:     by_value
      - .address_space:  global
        .offset:         8
        .size:           8
        .value_kind:     global_buffer
      - .offset:         16
        .size:           8
        .value_kind:     by_value
      - .offset:         24
        .size:           4
        .value_kind:     by_value
      - .offset:         32
        .size:           8
        .value_kind:     by_value
      - .address_space:  global
        .offset:         40
        .size:           8
        .value_kind:     global_buffer
      - .offset:         48
        .size:           8
        .value_kind:     by_value
      - .offset:         56
        .size:           8
        .value_kind:     by_value
      - .address_space:  global
        .offset:         64
        .size:           8
        .value_kind:     global_buffer
      - .offset:         72
        .size:           4
        .value_kind:     by_value
      - .offset:         76
        .size:           4
        .value_kind:     by_value
      - .address_space:  global
        .offset:         80
        .size:           8
        .value_kind:     global_buffer
      - .offset:         88
        .size:           8
        .value_kind:     by_value
      - .offset:         96
        .size:           4
        .value_kind:     hidden_block_count_x
      - .offset:         100
        .size:           4
        .value_kind:     hidden_block_count_y
      - .offset:         104
        .size:           4
        .value_kind:     hidden_block_count_z
      - .offset:         108
        .size:           2
        .value_kind:     hidden_group_size_x
      - .offset:         110
        .size:           2
        .value_kind:     hidden_group_size_y
      - .offset:         112
        .size:           2
        .value_kind:     hidden_group_size_z
      - .offset:         114
        .size:           2
        .value_kind:     hidden_remainder_x
      - .offset:         116
        .size:           2
        .value_kind:     hidden_remainder_y
      - .offset:         118
        .size:           2
        .value_kind:     hidden_remainder_z
      - .offset:         136
        .size:           8
        .value_kind:     hidden_global_offset_x
      - .offset:         144
        .size:           8
        .value_kind:     hidden_global_offset_y
      - .offset:         152
        .size:           8
        .value_kind:     hidden_global_offset_z
      - .offset:         160
        .size:           2
        .value_kind:     hidden_grid_dims
      - .offset:         216
        .size:           4
        .value_kind:     hidden_dynamic_lds_size
    .group_segment_fixed_size: 8
    .kernarg_segment_align: 8
    .kernarg_segment_size: 352
    .language:       OpenCL C
    .language_version:
      - 2
      - 0
    .max_flat_workgroup_size: 1024
    .name:           _ZN9rocsolver6v33100L18getf2_panel_kernelI19rocblas_complex_numIfEiiPS3_EEvT0_S5_T2_lS5_lPS5_llPT1_S5_S5_S7_l
    .private_segment_fixed_size: 0
    .sgpr_count:     55
    .sgpr_spill_count: 0
    .symbol:         _ZN9rocsolver6v33100L18getf2_panel_kernelI19rocblas_complex_numIfEiiPS3_EEvT0_S5_T2_lS5_lPS5_llPT1_S5_S5_S7_l.kd
    .uniform_work_group_size: 1
    .uses_dynamic_stack: false
    .vgpr_count:     36
    .vgpr_spill_count: 0
    .wavefront_size: 64
  - .agpr_count:     0
    .args:
      - .offset:         0
        .size:           4
        .value_kind:     by_value
      - .offset:         4
        .size:           4
        .value_kind:     by_value
      - .address_space:  global
        .offset:         8
        .size:           8
        .value_kind:     global_buffer
      - .offset:         16
        .size:           8
        .value_kind:     by_value
      - .offset:         24
        .size:           4
        .value_kind:     by_value
      - .offset:         32
        .size:           8
        .value_kind:     by_value
      - .address_space:  global
        .offset:         40
        .size:           8
        .value_kind:     global_buffer
      - .offset:         48
        .size:           4
        .value_kind:     by_value
      - .offset:         52
        .size:           4
        .value_kind:     by_value
      - .offset:         56
        .size:           4
        .value_kind:     hidden_block_count_x
      - .offset:         60
        .size:           4
        .value_kind:     hidden_block_count_y
      - .offset:         64
        .size:           4
        .value_kind:     hidden_block_count_z
      - .offset:         68
        .size:           2
        .value_kind:     hidden_group_size_x
      - .offset:         70
        .size:           2
        .value_kind:     hidden_group_size_y
      - .offset:         72
        .size:           2
        .value_kind:     hidden_group_size_z
      - .offset:         74
        .size:           2
        .value_kind:     hidden_remainder_x
      - .offset:         76
        .size:           2
        .value_kind:     hidden_remainder_y
      - .offset:         78
        .size:           2
        .value_kind:     hidden_remainder_z
      - .offset:         96
        .size:           8
        .value_kind:     hidden_global_offset_x
      - .offset:         104
        .size:           8
        .value_kind:     hidden_global_offset_y
      - .offset:         112
        .size:           8
        .value_kind:     hidden_global_offset_z
      - .offset:         120
        .size:           2
        .value_kind:     hidden_grid_dims
      - .offset:         176
        .size:           4
        .value_kind:     hidden_dynamic_lds_size
    .group_segment_fixed_size: 0
    .kernarg_segment_align: 8
    .kernarg_segment_size: 312
    .language:       OpenCL C
    .language_version:
      - 2
      - 0
    .max_flat_workgroup_size: 1024
    .name:           _ZN9rocsolver6v33100L23getf2_npvt_panel_kernelI19rocblas_complex_numIfEiiPS3_EEvT0_S5_T2_lS5_lPT1_S5_S5_
    .private_segment_fixed_size: 0
    .sgpr_count:     36
    .sgpr_spill_count: 0
    .symbol:         _ZN9rocsolver6v33100L23getf2_npvt_panel_kernelI19rocblas_complex_numIfEiiPS3_EEvT0_S5_T2_lS5_lPT1_S5_S5_.kd
    .uniform_work_group_size: 1
    .uses_dynamic_stack: false
    .vgpr_count:     30
    .vgpr_spill_count: 0
    .wavefront_size: 64
  - .agpr_count:     0
    .args:
      - .offset:         0
        .size:           4
        .value_kind:     by_value
      - .offset:         4
        .size:           4
        .value_kind:     by_value
      - .address_space:  global
        .offset:         8
        .size:           8
        .value_kind:     global_buffer
      - .offset:         16
        .size:           8
        .value_kind:     by_value
      - .offset:         24
        .size:           4
        .value_kind:     by_value
      - .offset:         32
        .size:           8
        .value_kind:     by_value
      - .address_space:  global
        .offset:         40
        .size:           8
        .value_kind:     global_buffer
      - .offset:         48
        .size:           8
        .value_kind:     by_value
      - .offset:         56
        .size:           8
        .value_kind:     by_value
      - .address_space:  global
        .offset:         64
        .size:           8
        .value_kind:     global_buffer
      - .offset:         72
        .size:           4
        .value_kind:     by_value
      - .offset:         76
        .size:           4
        .value_kind:     by_value
      - .address_space:  global
        .offset:         80
        .size:           8
        .value_kind:     global_buffer
      - .offset:         88
        .size:           8
        .value_kind:     by_value
      - .offset:         96
        .size:           4
        .value_kind:     hidden_block_count_x
      - .offset:         100
        .size:           4
        .value_kind:     hidden_block_count_y
      - .offset:         104
        .size:           4
        .value_kind:     hidden_block_count_z
      - .offset:         108
        .size:           2
        .value_kind:     hidden_group_size_x
      - .offset:         110
        .size:           2
        .value_kind:     hidden_group_size_y
      - .offset:         112
        .size:           2
        .value_kind:     hidden_group_size_z
      - .offset:         114
        .size:           2
        .value_kind:     hidden_remainder_x
      - .offset:         116
        .size:           2
        .value_kind:     hidden_remainder_y
      - .offset:         118
        .size:           2
        .value_kind:     hidden_remainder_z
      - .offset:         136
        .size:           8
        .value_kind:     hidden_global_offset_x
      - .offset:         144
        .size:           8
        .value_kind:     hidden_global_offset_y
      - .offset:         152
        .size:           8
        .value_kind:     hidden_global_offset_z
      - .offset:         160
        .size:           2
        .value_kind:     hidden_grid_dims
      - .offset:         216
        .size:           4
        .value_kind:     hidden_dynamic_lds_size
    .group_segment_fixed_size: 8
    .kernarg_segment_align: 8
    .kernarg_segment_size: 352
    .language:       OpenCL C
    .language_version:
      - 2
      - 0
    .max_flat_workgroup_size: 1024
    .name:           _ZN9rocsolver6v33100L18getf2_panel_kernelI19rocblas_complex_numIfEiiPKPS3_EEvT0_S7_T2_lS7_lPS7_llPT1_S7_S7_S9_l
    .private_segment_fixed_size: 0
    .sgpr_count:     55
    .sgpr_spill_count: 0
    .symbol:         _ZN9rocsolver6v33100L18getf2_panel_kernelI19rocblas_complex_numIfEiiPKPS3_EEvT0_S7_T2_lS7_lPS7_llPT1_S7_S7_S9_l.kd
    .uniform_work_group_size: 1
    .uses_dynamic_stack: false
    .vgpr_count:     36
    .vgpr_spill_count: 0
    .wavefront_size: 64
  - .agpr_count:     0
    .args:
      - .offset:         0
        .size:           4
        .value_kind:     by_value
      - .offset:         4
        .size:           4
        .value_kind:     by_value
      - .address_space:  global
        .offset:         8
        .size:           8
        .value_kind:     global_buffer
      - .offset:         16
        .size:           8
        .value_kind:     by_value
      - .offset:         24
        .size:           4
        .value_kind:     by_value
      - .offset:         32
        .size:           8
        .value_kind:     by_value
      - .address_space:  global
        .offset:         40
        .size:           8
        .value_kind:     global_buffer
      - .offset:         48
        .size:           4
        .value_kind:     by_value
      - .offset:         52
        .size:           4
        .value_kind:     by_value
      - .offset:         56
        .size:           4
        .value_kind:     hidden_block_count_x
      - .offset:         60
        .size:           4
        .value_kind:     hidden_block_count_y
      - .offset:         64
        .size:           4
        .value_kind:     hidden_block_count_z
      - .offset:         68
        .size:           2
        .value_kind:     hidden_group_size_x
      - .offset:         70
        .size:           2
        .value_kind:     hidden_group_size_y
      - .offset:         72
        .size:           2
        .value_kind:     hidden_group_size_z
      - .offset:         74
        .size:           2
        .value_kind:     hidden_remainder_x
      - .offset:         76
        .size:           2
        .value_kind:     hidden_remainder_y
      - .offset:         78
        .size:           2
        .value_kind:     hidden_remainder_z
      - .offset:         96
        .size:           8
        .value_kind:     hidden_global_offset_x
      - .offset:         104
        .size:           8
        .value_kind:     hidden_global_offset_y
      - .offset:         112
        .size:           8
        .value_kind:     hidden_global_offset_z
      - .offset:         120
        .size:           2
        .value_kind:     hidden_grid_dims
      - .offset:         176
        .size:           4
        .value_kind:     hidden_dynamic_lds_size
    .group_segment_fixed_size: 0
    .kernarg_segment_align: 8
    .kernarg_segment_size: 312
    .language:       OpenCL C
    .language_version:
      - 2
      - 0
    .max_flat_workgroup_size: 1024
    .name:           _ZN9rocsolver6v33100L23getf2_npvt_panel_kernelI19rocblas_complex_numIfEiiPKPS3_EEvT0_S7_T2_lS7_lPT1_S7_S7_
    .private_segment_fixed_size: 0
    .sgpr_count:     34
    .sgpr_spill_count: 0
    .symbol:         _ZN9rocsolver6v33100L23getf2_npvt_panel_kernelI19rocblas_complex_numIfEiiPKPS3_EEvT0_S7_T2_lS7_lPT1_S7_S7_.kd
    .uniform_work_group_size: 1
    .uses_dynamic_stack: false
    .vgpr_count:     30
    .vgpr_spill_count: 0
    .wavefront_size: 64
  - .agpr_count:     0
    .args:
      - .offset:         0
        .size:           4
        .value_kind:     by_value
      - .offset:         4
        .size:           4
        .value_kind:     by_value
      - .address_space:  global
        .offset:         8
        .size:           8
        .value_kind:     global_buffer
      - .address_space:  global
        .offset:         16
        .size:           8
        .value_kind:     global_buffer
      - .offset:         24
        .size:           8
        .value_kind:     by_value
      - .offset:         32
        .size:           4
        .value_kind:     by_value
      - .offset:         40
        .size:           8
        .value_kind:     by_value
      - .offset:         48
        .size:           4
        .value_kind:     hidden_block_count_x
      - .offset:         52
        .size:           4
        .value_kind:     hidden_block_count_y
      - .offset:         56
        .size:           4
        .value_kind:     hidden_block_count_z
      - .offset:         60
        .size:           2
        .value_kind:     hidden_group_size_x
      - .offset:         62
        .size:           2
        .value_kind:     hidden_group_size_y
      - .offset:         64
        .size:           2
        .value_kind:     hidden_group_size_z
      - .offset:         66
        .size:           2
        .value_kind:     hidden_remainder_x
      - .offset:         68
        .size:           2
        .value_kind:     hidden_remainder_y
      - .offset:         70
        .size:           2
        .value_kind:     hidden_remainder_z
      - .offset:         88
        .size:           8
        .value_kind:     hidden_global_offset_x
      - .offset:         96
        .size:           8
        .value_kind:     hidden_global_offset_y
      - .offset:         104
        .size:           8
        .value_kind:     hidden_global_offset_z
      - .offset:         112
        .size:           2
        .value_kind:     hidden_grid_dims
      - .offset:         168
        .size:           4
        .value_kind:     hidden_dynamic_lds_size
    .group_segment_fixed_size: 0
    .kernarg_segment_align: 8
    .kernarg_segment_size: 304
    .language:       OpenCL C
    .language_version:
      - 2
      - 0
    .max_flat_workgroup_size: 1024
    .name:           _ZN9rocsolver6v33100L25getf2_scale_update_kernelI19rocblas_complex_numIfEiPS3_EEvT0_S5_PT_T1_lS5_l
    .private_segment_fixed_size: 0
    .sgpr_count:     26
    .sgpr_spill_count: 0
    .symbol:         _ZN9rocsolver6v33100L25getf2_scale_update_kernelI19rocblas_complex_numIfEiPS3_EEvT0_S5_PT_T1_lS5_l.kd
    .uniform_work_group_size: 1
    .uses_dynamic_stack: false
    .vgpr_count:     18
    .vgpr_spill_count: 0
    .wavefront_size: 64
  - .agpr_count:     0
    .args:
      - .offset:         0
        .size:           4
        .value_kind:     by_value
      - .offset:         4
        .size:           4
        .value_kind:     by_value
      - .address_space:  global
        .offset:         8
        .size:           8
        .value_kind:     global_buffer
      - .address_space:  global
        .offset:         16
        .size:           8
        .value_kind:     global_buffer
      - .offset:         24
        .size:           8
        .value_kind:     by_value
      - .offset:         32
        .size:           4
        .value_kind:     by_value
      - .offset:         40
        .size:           8
        .value_kind:     by_value
      - .offset:         48
        .size:           4
        .value_kind:     hidden_block_count_x
      - .offset:         52
        .size:           4
        .value_kind:     hidden_block_count_y
      - .offset:         56
        .size:           4
        .value_kind:     hidden_block_count_z
      - .offset:         60
        .size:           2
        .value_kind:     hidden_group_size_x
      - .offset:         62
        .size:           2
        .value_kind:     hidden_group_size_y
      - .offset:         64
        .size:           2
        .value_kind:     hidden_group_size_z
      - .offset:         66
        .size:           2
        .value_kind:     hidden_remainder_x
      - .offset:         68
        .size:           2
        .value_kind:     hidden_remainder_y
      - .offset:         70
        .size:           2
        .value_kind:     hidden_remainder_z
      - .offset:         88
        .size:           8
        .value_kind:     hidden_global_offset_x
      - .offset:         96
        .size:           8
        .value_kind:     hidden_global_offset_y
      - .offset:         104
        .size:           8
        .value_kind:     hidden_global_offset_z
      - .offset:         112
        .size:           2
        .value_kind:     hidden_grid_dims
      - .offset:         168
        .size:           4
        .value_kind:     hidden_dynamic_lds_size
    .group_segment_fixed_size: 0
    .kernarg_segment_align: 8
    .kernarg_segment_size: 304
    .language:       OpenCL C
    .language_version:
      - 2
      - 0
    .max_flat_workgroup_size: 1024
    .name:           _ZN9rocsolver6v33100L25getf2_scale_update_kernelI19rocblas_complex_numIfEiPKPS3_EEvT0_S7_PT_T1_lS7_l
    .private_segment_fixed_size: 0
    .sgpr_count:     26
    .sgpr_spill_count: 0
    .symbol:         _ZN9rocsolver6v33100L25getf2_scale_update_kernelI19rocblas_complex_numIfEiPKPS3_EEvT0_S7_PT_T1_lS7_l.kd
    .uniform_work_group_size: 1
    .uses_dynamic_stack: false
    .vgpr_count:     18
    .vgpr_spill_count: 0
    .wavefront_size: 64
  - .agpr_count:     0
    .args:
      - .offset:         0
        .size:           8
        .value_kind:     by_value
      - .offset:         8
        .size:           8
        .value_kind:     by_value
      - .address_space:  global
        .offset:         16
        .size:           8
        .value_kind:     global_buffer
      - .offset:         24
        .size:           8
        .value_kind:     by_value
      - .offset:         32
        .size:           8
        .value_kind:     by_value
      - .offset:         40
        .size:           8
        .value_kind:     by_value
      - .address_space:  global
        .offset:         48
        .size:           8
        .value_kind:     global_buffer
      - .offset:         56
        .size:           8
        .value_kind:     by_value
      - .offset:         64
        .size:           8
        .value_kind:     by_value
      - .address_space:  global
        .offset:         72
        .size:           8
        .value_kind:     global_buffer
      - .offset:         80
        .size:           8
        .value_kind:     by_value
      - .offset:         88
        .size:           8
        .value_kind:     by_value
      - .address_space:  global
        .offset:         96
        .size:           8
        .value_kind:     global_buffer
      - .offset:         104
        .size:           8
        .value_kind:     by_value
      - .offset:         112
        .size:           4
        .value_kind:     hidden_block_count_x
      - .offset:         116
        .size:           4
        .value_kind:     hidden_block_count_y
      - .offset:         120
        .size:           4
        .value_kind:     hidden_block_count_z
      - .offset:         124
        .size:           2
        .value_kind:     hidden_group_size_x
      - .offset:         126
        .size:           2
        .value_kind:     hidden_group_size_y
      - .offset:         128
        .size:           2
        .value_kind:     hidden_group_size_z
      - .offset:         130
        .size:           2
        .value_kind:     hidden_remainder_x
      - .offset:         132
        .size:           2
        .value_kind:     hidden_remainder_y
      - .offset:         134
        .size:           2
        .value_kind:     hidden_remainder_z
      - .offset:         152
        .size:           8
        .value_kind:     hidden_global_offset_x
      - .offset:         160
        .size:           8
        .value_kind:     hidden_global_offset_y
      - .offset:         168
        .size:           8
        .value_kind:     hidden_global_offset_z
      - .offset:         176
        .size:           2
        .value_kind:     hidden_grid_dims
      - .offset:         232
        .size:           4
        .value_kind:     hidden_dynamic_lds_size
    .group_segment_fixed_size: 8
    .kernarg_segment_align: 8
    .kernarg_segment_size: 368
    .language:       OpenCL C
    .language_version:
      - 2
      - 0
    .max_flat_workgroup_size: 1024
    .name:           _ZN9rocsolver6v33100L18getf2_panel_kernelI19rocblas_complex_numIfEllPS3_EEvT0_S5_T2_lS5_lPS5_llPT1_S5_S5_S7_l
    .private_segment_fixed_size: 0
    .sgpr_count:     64
    .sgpr_spill_count: 0
    .symbol:         _ZN9rocsolver6v33100L18getf2_panel_kernelI19rocblas_complex_numIfEllPS3_EEvT0_S5_T2_lS5_lPS5_llPT1_S5_S5_S7_l.kd
    .uniform_work_group_size: 1
    .uses_dynamic_stack: false
    .vgpr_count:     42
    .vgpr_spill_count: 0
    .wavefront_size: 64
  - .agpr_count:     0
    .args:
      - .offset:         0
        .size:           8
        .value_kind:     by_value
      - .offset:         8
        .size:           8
        .value_kind:     by_value
      - .address_space:  global
        .offset:         16
        .size:           8
        .value_kind:     global_buffer
      - .offset:         24
        .size:           8
        .value_kind:     by_value
      - .offset:         32
        .size:           8
        .value_kind:     by_value
      - .offset:         40
        .size:           8
        .value_kind:     by_value
      - .address_space:  global
        .offset:         48
        .size:           8
        .value_kind:     global_buffer
      - .offset:         56
        .size:           8
        .value_kind:     by_value
      - .offset:         64
        .size:           8
        .value_kind:     by_value
      - .offset:         72
        .size:           4
        .value_kind:     hidden_block_count_x
      - .offset:         76
        .size:           4
        .value_kind:     hidden_block_count_y
      - .offset:         80
        .size:           4
        .value_kind:     hidden_block_count_z
      - .offset:         84
        .size:           2
        .value_kind:     hidden_group_size_x
      - .offset:         86
        .size:           2
        .value_kind:     hidden_group_size_y
      - .offset:         88
        .size:           2
        .value_kind:     hidden_group_size_z
      - .offset:         90
        .size:           2
        .value_kind:     hidden_remainder_x
      - .offset:         92
        .size:           2
        .value_kind:     hidden_remainder_y
      - .offset:         94
        .size:           2
        .value_kind:     hidden_remainder_z
      - .offset:         112
        .size:           8
        .value_kind:     hidden_global_offset_x
      - .offset:         120
        .size:           8
        .value_kind:     hidden_global_offset_y
      - .offset:         128
        .size:           8
        .value_kind:     hidden_global_offset_z
      - .offset:         136
        .size:           2
        .value_kind:     hidden_grid_dims
      - .offset:         192
        .size:           4
        .value_kind:     hidden_dynamic_lds_size
    .group_segment_fixed_size: 0
    .kernarg_segment_align: 8
    .kernarg_segment_size: 328
    .language:       OpenCL C
    .language_version:
      - 2
      - 0
    .max_flat_workgroup_size: 1024
    .name:           _ZN9rocsolver6v33100L23getf2_npvt_panel_kernelI19rocblas_complex_numIfEllPS3_EEvT0_S5_T2_lS5_lPT1_S5_S5_
    .private_segment_fixed_size: 0
    .sgpr_count:     44
    .sgpr_spill_count: 0
    .symbol:         _ZN9rocsolver6v33100L23getf2_npvt_panel_kernelI19rocblas_complex_numIfEllPS3_EEvT0_S5_T2_lS5_lPT1_S5_S5_.kd
    .uniform_work_group_size: 1
    .uses_dynamic_stack: false
    .vgpr_count:     34
    .vgpr_spill_count: 0
    .wavefront_size: 64
  - .agpr_count:     0
    .args:
      - .offset:         0
        .size:           8
        .value_kind:     by_value
      - .offset:         8
        .size:           8
        .value_kind:     by_value
      - .address_space:  global
        .offset:         16
        .size:           8
        .value_kind:     global_buffer
      - .offset:         24
        .size:           8
        .value_kind:     by_value
      - .offset:         32
        .size:           8
        .value_kind:     by_value
      - .offset:         40
        .size:           8
        .value_kind:     by_value
      - .address_space:  global
        .offset:         48
        .size:           8
        .value_kind:     global_buffer
      - .offset:         56
        .size:           8
        .value_kind:     by_value
      - .offset:         64
        .size:           8
        .value_kind:     by_value
      - .address_space:  global
        .offset:         72
        .size:           8
        .value_kind:     global_buffer
      - .offset:         80
        .size:           8
        .value_kind:     by_value
      - .offset:         88
        .size:           8
        .value_kind:     by_value
      - .address_space:  global
        .offset:         96
        .size:           8
        .value_kind:     global_buffer
      - .offset:         104
        .size:           8
        .value_kind:     by_value
      - .offset:         112
        .size:           4
        .value_kind:     hidden_block_count_x
      - .offset:         116
        .size:           4
        .value_kind:     hidden_block_count_y
      - .offset:         120
        .size:           4
        .value_kind:     hidden_block_count_z
      - .offset:         124
        .size:           2
        .value_kind:     hidden_group_size_x
      - .offset:         126
        .size:           2
        .value_kind:     hidden_group_size_y
      - .offset:         128
        .size:           2
        .value_kind:     hidden_group_size_z
      - .offset:         130
        .size:           2
        .value_kind:     hidden_remainder_x
      - .offset:         132
        .size:           2
        .value_kind:     hidden_remainder_y
      - .offset:         134
        .size:           2
        .value_kind:     hidden_remainder_z
      - .offset:         152
        .size:           8
        .value_kind:     hidden_global_offset_x
      - .offset:         160
        .size:           8
        .value_kind:     hidden_global_offset_y
      - .offset:         168
        .size:           8
        .value_kind:     hidden_global_offset_z
      - .offset:         176
        .size:           2
        .value_kind:     hidden_grid_dims
      - .offset:         232
        .size:           4
        .value_kind:     hidden_dynamic_lds_size
    .group_segment_fixed_size: 8
    .kernarg_segment_align: 8
    .kernarg_segment_size: 368
    .language:       OpenCL C
    .language_version:
      - 2
      - 0
    .max_flat_workgroup_size: 1024
    .name:           _ZN9rocsolver6v33100L18getf2_panel_kernelI19rocblas_complex_numIfEllPKPS3_EEvT0_S7_T2_lS7_lPS7_llPT1_S7_S7_S9_l
    .private_segment_fixed_size: 0
    .sgpr_count:     64
    .sgpr_spill_count: 0
    .symbol:         _ZN9rocsolver6v33100L18getf2_panel_kernelI19rocblas_complex_numIfEllPKPS3_EEvT0_S7_T2_lS7_lPS7_llPT1_S7_S7_S9_l.kd
    .uniform_work_group_size: 1
    .uses_dynamic_stack: false
    .vgpr_count:     40
    .vgpr_spill_count: 0
    .wavefront_size: 64
  - .agpr_count:     0
    .args:
      - .offset:         0
        .size:           8
        .value_kind:     by_value
      - .offset:         8
        .size:           8
        .value_kind:     by_value
      - .address_space:  global
        .offset:         16
        .size:           8
        .value_kind:     global_buffer
      - .offset:         24
        .size:           8
        .value_kind:     by_value
      - .offset:         32
        .size:           8
        .value_kind:     by_value
      - .offset:         40
        .size:           8
        .value_kind:     by_value
      - .address_space:  global
        .offset:         48
        .size:           8
        .value_kind:     global_buffer
      - .offset:         56
        .size:           8
        .value_kind:     by_value
      - .offset:         64
        .size:           8
        .value_kind:     by_value
      - .offset:         72
        .size:           4
        .value_kind:     hidden_block_count_x
      - .offset:         76
        .size:           4
        .value_kind:     hidden_block_count_y
      - .offset:         80
        .size:           4
        .value_kind:     hidden_block_count_z
      - .offset:         84
        .size:           2
        .value_kind:     hidden_group_size_x
      - .offset:         86
        .size:           2
        .value_kind:     hidden_group_size_y
      - .offset:         88
        .size:           2
        .value_kind:     hidden_group_size_z
      - .offset:         90
        .size:           2
        .value_kind:     hidden_remainder_x
      - .offset:         92
        .size:           2
        .value_kind:     hidden_remainder_y
      - .offset:         94
        .size:           2
        .value_kind:     hidden_remainder_z
      - .offset:         112
        .size:           8
        .value_kind:     hidden_global_offset_x
      - .offset:         120
        .size:           8
        .value_kind:     hidden_global_offset_y
      - .offset:         128
        .size:           8
        .value_kind:     hidden_global_offset_z
      - .offset:         136
        .size:           2
        .value_kind:     hidden_grid_dims
      - .offset:         192
        .size:           4
        .value_kind:     hidden_dynamic_lds_size
    .group_segment_fixed_size: 0
    .kernarg_segment_align: 8
    .kernarg_segment_size: 328
    .language:       OpenCL C
    .language_version:
      - 2
      - 0
    .max_flat_workgroup_size: 1024
    .name:           _ZN9rocsolver6v33100L23getf2_npvt_panel_kernelI19rocblas_complex_numIfEllPKPS3_EEvT0_S7_T2_lS7_lPT1_S7_S7_
    .private_segment_fixed_size: 0
    .sgpr_count:     42
    .sgpr_spill_count: 0
    .symbol:         _ZN9rocsolver6v33100L23getf2_npvt_panel_kernelI19rocblas_complex_numIfEllPKPS3_EEvT0_S7_T2_lS7_lPT1_S7_S7_.kd
    .uniform_work_group_size: 1
    .uses_dynamic_stack: false
    .vgpr_count:     34
    .vgpr_spill_count: 0
    .wavefront_size: 64
  - .agpr_count:     0
    .args:
      - .offset:         0
        .size:           8
        .value_kind:     by_value
      - .offset:         8
        .size:           8
        .value_kind:     by_value
      - .address_space:  global
        .offset:         16
        .size:           8
        .value_kind:     global_buffer
      - .address_space:  global
        .offset:         24
        .size:           8
        .value_kind:     global_buffer
      - .offset:         32
        .size:           8
        .value_kind:     by_value
      - .offset:         40
        .size:           8
        .value_kind:     by_value
      - .offset:         48
        .size:           8
        .value_kind:     by_value
      - .offset:         56
        .size:           4
        .value_kind:     hidden_block_count_x
      - .offset:         60
        .size:           4
        .value_kind:     hidden_block_count_y
      - .offset:         64
        .size:           4
        .value_kind:     hidden_block_count_z
      - .offset:         68
        .size:           2
        .value_kind:     hidden_group_size_x
      - .offset:         70
        .size:           2
        .value_kind:     hidden_group_size_y
      - .offset:         72
        .size:           2
        .value_kind:     hidden_group_size_z
      - .offset:         74
        .size:           2
        .value_kind:     hidden_remainder_x
      - .offset:         76
        .size:           2
        .value_kind:     hidden_remainder_y
      - .offset:         78
        .size:           2
        .value_kind:     hidden_remainder_z
      - .offset:         96
        .size:           8
        .value_kind:     hidden_global_offset_x
      - .offset:         104
        .size:           8
        .value_kind:     hidden_global_offset_y
      - .offset:         112
        .size:           8
        .value_kind:     hidden_global_offset_z
      - .offset:         120
        .size:           2
        .value_kind:     hidden_grid_dims
      - .offset:         176
        .size:           4
        .value_kind:     hidden_dynamic_lds_size
    .group_segment_fixed_size: 0
    .kernarg_segment_align: 8
    .kernarg_segment_size: 312
    .language:       OpenCL C
    .language_version:
      - 2
      - 0
    .max_flat_workgroup_size: 1024
    .name:           _ZN9rocsolver6v33100L25getf2_scale_update_kernelI19rocblas_complex_numIfElPS3_EEvT0_S5_PT_T1_lS5_l
    .private_segment_fixed_size: 0
    .sgpr_count:     32
    .sgpr_spill_count: 0
    .symbol:         _ZN9rocsolver6v33100L25getf2_scale_update_kernelI19rocblas_complex_numIfElPS3_EEvT0_S5_PT_T1_lS5_l.kd
    .uniform_work_group_size: 1
    .uses_dynamic_stack: false
    .vgpr_count:     18
    .vgpr_spill_count: 0
    .wavefront_size: 64
  - .agpr_count:     0
    .args:
      - .offset:         0
        .size:           8
        .value_kind:     by_value
      - .offset:         8
        .size:           8
        .value_kind:     by_value
      - .address_space:  global
        .offset:         16
        .size:           8
        .value_kind:     global_buffer
      - .address_space:  global
        .offset:         24
        .size:           8
        .value_kind:     global_buffer
      - .offset:         32
        .size:           8
        .value_kind:     by_value
      - .offset:         40
        .size:           8
        .value_kind:     by_value
      - .offset:         48
        .size:           8
        .value_kind:     by_value
      - .offset:         56
        .size:           4
        .value_kind:     hidden_block_count_x
      - .offset:         60
        .size:           4
        .value_kind:     hidden_block_count_y
      - .offset:         64
        .size:           4
        .value_kind:     hidden_block_count_z
      - .offset:         68
        .size:           2
        .value_kind:     hidden_group_size_x
      - .offset:         70
        .size:           2
        .value_kind:     hidden_group_size_y
      - .offset:         72
        .size:           2
        .value_kind:     hidden_group_size_z
      - .offset:         74
        .size:           2
        .value_kind:     hidden_remainder_x
      - .offset:         76
        .size:           2
        .value_kind:     hidden_remainder_y
      - .offset:         78
        .size:           2
        .value_kind:     hidden_remainder_z
      - .offset:         96
        .size:           8
        .value_kind:     hidden_global_offset_x
      - .offset:         104
        .size:           8
        .value_kind:     hidden_global_offset_y
      - .offset:         112
        .size:           8
        .value_kind:     hidden_global_offset_z
      - .offset:         120
        .size:           2
        .value_kind:     hidden_grid_dims
      - .offset:         176
        .size:           4
        .value_kind:     hidden_dynamic_lds_size
    .group_segment_fixed_size: 0
    .kernarg_segment_align: 8
    .kernarg_segment_size: 312
    .language:       OpenCL C
    .language_version:
      - 2
      - 0
    .max_flat_workgroup_size: 1024
    .name:           _ZN9rocsolver6v33100L25getf2_scale_update_kernelI19rocblas_complex_numIfElPKPS3_EEvT0_S7_PT_T1_lS7_l
    .private_segment_fixed_size: 0
    .sgpr_count:     30
    .sgpr_spill_count: 0
    .symbol:         _ZN9rocsolver6v33100L25getf2_scale_update_kernelI19rocblas_complex_numIfElPKPS3_EEvT0_S7_PT_T1_lS7_l.kd
    .uniform_work_group_size: 1
    .uses_dynamic_stack: false
    .vgpr_count:     18
    .vgpr_spill_count: 0
    .wavefront_size: 64
amdhsa.target:   amdgcn-amd-amdhsa--gfx950
amdhsa.version:
  - 1
  - 2
...

	.end_amdgpu_metadata
